;; amdgpu-corpus repo=ROCm/aiter kind=harvested arch=n/a opt=n/a

/root/src/amdgpu-assembly/repos/ROCm__aiter/hsa/gfx950/pa/pa_fp16_pertokenInt8_gqa8_1tg_4w_mtp_msk1.co:	file format elf64-amdgpu

Disassembly of section .text:

0000000000002200 <_ZN5aiter41pa_fp16_pertokenInt8_gqa8_1tg_4w_mtp_msk1E>:
	s_and_b32 s1, s1, 0xffff                                   // 000000002200: 8601FF01 0000FFFF
	s_load_dwordx2 s[8:9], s[0:1], 0x0                         // 000000002208: C0060200 00000000
	s_load_dwordx2 s[12:13], s[0:1], 0x10                      // 000000002210: C0060300 00000010
	s_load_dwordx2 s[16:17], s[0:1], 0x20                      // 000000002218: C0060400 00000020
	s_load_dwordx2 s[20:21], s[0:1], 0x30                      // 000000002220: C0060500 00000030
	s_load_dwordx2 s[24:25], s[0:1], 0x40                      // 000000002228: C0060600 00000040
	s_load_dwordx2 s[28:29], s[0:1], 0x50                      // 000000002230: C0060700 00000050
	s_load_dwordx2 s[32:33], s[0:1], 0x60                      // 000000002238: C0060800 00000060
	s_load_dwordx2 s[36:37], s[0:1], 0x70                      // 000000002240: C0060900 00000070
	s_load_dword s64, s[0:1], 0x80                             // 000000002248: C0021000 00000080
	s_load_dword s65, s[0:1], 0x90                             // 000000002250: C0021040 00000090
	s_load_dword s66, s[0:1], 0xa0                             // 000000002258: C0021080 000000A0
	s_load_dword s74, s[0:1], 0xb0                             // 000000002260: C0021280 000000B0
	s_load_dword s68, s[0:1], 0xc0                             // 000000002268: C0021100 000000C0
	s_load_dword s69, s[0:1], 0xd0                             // 000000002270: C0021140 000000D0
	s_load_dword s77, s[0:1], 0xe0                             // 000000002278: C0021340 000000E0
	s_load_dwordx2 s[80:81], s[0:1], 0xf0                      // 000000002280: C0061400 000000F0
	v_lshrrev_b32_e32 v1, 10, v0                               // 000000002288: 2002008A
	v_lshrrev_b32_e32 v2, 10, v1                               // 00000000228C: 2004028A
	v_and_b32_e32 v2, 0x3ff, v2                                // 000000002290: 260404FF 000003FF
	v_and_b32_e32 v1, 0x3ff, v1                                // 000000002298: 260202FF 000003FF
	v_and_b32_e32 v0, 0x3ff, v0                                // 0000000022A0: 260000FF 000003FF
	v_lshrrev_b32_e32 v3, 6, v0                                // 0000000022A8: 20060086
	v_and_b32_e32 v0, 63, v0                                   // 0000000022AC: 260000BF
	s_mov_b32 s2, s2                                           // 0000000022B0: BE820002
	s_mov_b32 s3, s3                                           // 0000000022B4: BE830003
	s_mov_b32 s4, s4                                           // 0000000022B8: BE840004
	v_readfirstlane_b32 s7, v3                                 // 0000000022BC: 7E0E0503
	s_waitcnt lgkmcnt(0)                                       // 0000000022C0: BF8CC07F
	s_mul_i32 s67, 0x100, s77                                  // 0000000022C4: 92434DFF 00000100
	s_mul_i32 s76, 0x100, s77                                  // 0000000022CC: 924C4DFF 00000100
	s_mul_i32 s75, s66, s76                                    // 0000000022D4: 924B4C42
	s_mul_i32 s60, s3, 4                                       // 0000000022D8: 923C8403
	s_and_b32 s29, s29, 0xffff                                 // 0000000022DC: 861DFF1D 0000FFFF
	s_add_u32 s28, s60, s28                                    // 0000000022E4: 801C1C3C
	s_addc_u32 s29, 0, s29                                     // 0000000022E8: 821D1D80
	s_load_dword s72, s[28:29], 0x0                            // 0000000022EC: C002120E 00000000
	s_mul_i32 s60, s3, 4                                       // 0000000022F4: 923C8403
	s_and_b32 s81, s81, 0xffff                                 // 0000000022F8: 8651FF51 0000FFFF
	s_add_u32 s80, s60, s80                                    // 000000002300: 8050503C
	s_addc_u32 s81, 0, s81                                     // 000000002304: 82515180
	s_load_dword s84, s[80:81], 0x0                            // 000000002308: C0021528 00000000
	s_load_dword s85, s[80:81], 0x4                            // 000000002310: C0021568 00000004
	s_mov_b32 s10, s76                                         // 000000002318: BE8A004C
	s_mov_b32 s14, s67                                         // 00000000231C: BE8E0043
	s_mul_i32 s60, 4, s65                                      // 000000002320: 923C4184
	s_mov_b32 s26, s60                                         // 000000002324: BE9A003C
	s_mov_b32 s34, 0x80000000                                  // 000000002328: BEA200FF 80000000
	s_mov_b32 s38, 0x80000000                                  // 000000002330: BEA600FF 80000000
	s_mov_b32 s18, 0x80000000                                  // 000000002338: BE9200FF 80000000
	s_mov_b32 s22, 0x80000000                                  // 000000002340: BE9600FF 80000000
	s_mov_b32 s11, 0x20000                                     // 000000002348: BE8B00FF 00020000
	s_mov_b32 s15, 0x20000                                     // 000000002350: BE8F00FF 00020000
	s_mov_b32 s19, 0x20000                                     // 000000002358: BE9300FF 00020000
	s_mov_b32 s23, 0x20000                                     // 000000002360: BE9700FF 00020000
	s_mov_b32 s27, 0x20000                                     // 000000002368: BE9B00FF 00020000
	s_mov_b32 s35, 0x20000                                     // 000000002370: BEA300FF 00020000
	s_mov_b32 s39, 0x20000                                     // 000000002378: BEA700FF 00020000
	s_and_b32 s9, s9, 0xffff                                   // 000000002380: 8609FF09 0000FFFF
	s_and_b32 s13, s13, 0xffff                                 // 000000002388: 860DFF0D 0000FFFF
	s_and_b32 s17, s17, 0xffff                                 // 000000002390: 8611FF11 0000FFFF
	s_and_b32 s21, s21, 0xffff                                 // 000000002398: 8615FF15 0000FFFF
	s_and_b32 s25, s25, 0xffff                                 // 0000000023A0: 8619FF19 0000FFFF
	s_and_b32 s33, s33, 0xffff                                 // 0000000023A8: 8621FF21 0000FFFF
	s_and_b32 s37, s37, 0xffff                                 // 0000000023B0: 8625FF25 0000FFFF
	s_or_b32 s9, s9, 0x40000                                   // 0000000023B8: 8709FF09 00040000
	s_or_b32 s13, s13, 0x40000                                 // 0000000023C0: 870DFF0D 00040000
	s_or_b32 s17, s17, 0x40000                                 // 0000000023C8: 8711FF11 00040000
	s_or_b32 s21, s21, 0x40000                                 // 0000000023D0: 8715FF15 00040000
	s_or_b32 s25, s25, 0x40000                                 // 0000000023D8: 8719FF19 00040000
	s_or_b32 s33, s33, 0x40000                                 // 0000000023E0: 8721FF21 00040000
	s_or_b32 s37, s37, 0x40000                                 // 0000000023E8: 8725FF25 00040000
	v_accvgpr_write_b32 a127, 0                                // 0000000023F0: D3D9407F 18000080
	v_mov_b32_e32 v255, 0                                      // 0000000023F8: 7FFE0280
	s_mov_b32 s88, 0                                           // 0000000023FC: BED80080
	s_waitcnt lgkmcnt(0)                                       // 000000002400: BF8CC07F
	s_sub_u32 s86, s85, s84                                    // 000000002404: 80D65455
	s_mov_b32 s60, 2                                           // 000000002408: BEBC0082
	s_cmp_eq_i32 s60, s86                                      // 00000000240C: BF00563C
	s_cbranch_scc1 label_0E65                                  // 000000002410: BF850DE0
	s_mov_b32 s60, 3                                           // 000000002414: BEBC0083
	s_cmp_eq_i32 s60, s86                                      // 000000002418: BF00563C
	s_cbranch_scc1 label_22BB                                  // 00000000241C: BF852233
	s_mov_b32 s60, 4                                           // 000000002420: BEBC0084
	s_cmp_eq_i32 s60, s86                                      // 000000002424: BF00563C
	s_cbranch_scc1 label_22BD                                  // 000000002428: BF852232
	s_mul_i32 s60, s3, s65                                     // 00000000242C: 923C4103
	s_mul_i32 s60, s60, 4                                      // 000000002430: 923C843C
	s_add_u32 s24, s60, s24                                    // 000000002434: 8018183C
	s_addc_u32 s25, 0, s25                                     // 000000002438: 82191980
	s_mov_b32 s56, 64                                          // 00000000243C: BEB800C0
	s_add_u32 s73, s72, 15                                     // 000000002440: 80498F48
	s_lshr_b32 s73, s73, 4                                     // 000000002444: 8F498449
	s_mul_i32 s60, s73, 4                                      // 000000002448: 923C8449
	s_mov_b32 s26, s60                                         // 00000000244C: BE9A003C
	v_and_b32_e32 v42, 3, v0                                   // 000000002450: 26540083
	v_cmp_eq_u32_e64 s[60:61], 0, v42                          // 000000002454: D0CA003C 00025480
	v_and_b32_e32 v41, 12, v0                                  // 00000000245C: 2652008C
	v_add_u32_e32 v1, s7, v41                                  // 000000002460: 68025207
	v_cndmask_b32_e64 v1, 0, v1, s[60:61]                      // 000000002464: D1000001 00F20280
	v_and_b32_e32 v42, 3, v0                                   // 00000000246C: 26540083
	v_cmp_eq_u32_e64 s[60:61], 1, v42                          // 000000002470: D0CA003C 00025481
	v_lshrrev_b32_e32 v41, 4, v0                               // 000000002478: 20520084
	v_and_b32_e32 v42, 12, v0                                  // 00000000247C: 2654008C
	v_add_u32_e32 v41, v42, v41                                // 000000002480: 6852532A
	v_cndmask_b32_e64 v41, 0, v41, s[60:61]                    // 000000002484: D1000029 00F25280
	v_add_u32_e32 v1, v1, v41                                  // 00000000248C: 68025301
	v_lshlrev_b32_e32 v1, 2, v1                                // 000000002490: 24020282
	buffer_load_dword v19, v1, s[24:27], 0 offen               // 000000002494: E0501000 80061301
	v_add_u32_e32 v1, s56, v1                                  // 00000000249C: 68020238
	buffer_load_dword v20, v1, s[24:27], 0 offen               // 0000000024A0: E0501000 80061401
	s_cmp_le_u32 s73, 32                                       // 0000000024A8: BF0BA049
	s_cselect_b32 s56, 0, s56                                  // 0000000024AC: 85383880
	s_mul_i32 s60, s2, s67                                     // 0000000024B0: 923C4302
	s_mul_i32 s61, s84, s74                                    // 0000000024B4: 923D4A54
	s_add_u32 s60, s60, s61                                    // 0000000024B8: 803C3D3C
	s_add_u32 s12, s60, s12                                    // 0000000024BC: 800C0C3C
	s_addc_u32 s13, 0, s13                                     // 0000000024C0: 820D0D80
	s_mul_i32 s60, s7, 0x108                                   // 0000000024C4: 923CFF07 00000108
	s_add_u32 m0, 0, s60                                       // 0000000024CC: 807C3C80
	s_mul_i32 s60, s7, 0x100                                   // 0000000024D0: 923CFF07 00000100
	v_lshlrev_b32_e32 v41, 2, v0                               // 0000000024D8: 24520082
	v_add_u32_e64 v41, v41, s60                                // 0000000024DC: D1340029 00007929
	buffer_load_dword v41, s[12:15], 0 offen lds               // 0000000024E4: E0511000 80030029
	s_mul_i32 s60, 4, 0x108                                    // 0000000024EC: 923CFF84 00000108
	s_add_u32 m0, m0, s60                                      // 0000000024F4: 807C3C7C
	v_add_u32_e32 v41, 0x400, v41                              // 0000000024F8: 685252FF 00000400
	buffer_load_dword v41, s[12:15], 0 offen lds               // 000000002500: E0511000 80030029
	s_mul_i32 s60, 4, 0x108                                    // 000000002508: 923CFF84 00000108
	s_add_u32 m0, m0, s60                                      // 000000002510: 807C3C7C
	v_add_u32_e32 v41, 0x400, v41                              // 000000002514: 685252FF 00000400
	s_mul_i32 s60, s7, 0x108                                   // 00000000251C: 923CFF07 00000108
	v_lshlrev_b32_e32 v41, 2, v0                               // 000000002524: 24520082
	v_add_u32_e64 v41, v41, s60                                // 000000002528: D1340029 00007929
	v_mov_b32_e32 v42, 0                                       // 000000002530: 7E540280
	ds_write_b32 v41, v42 offset:2112                          // 000000002534: D81A0840 00002A29
	ds_write_b32 v41, v42 offset:3168                          // 00000000253C: D81A0C60 00002A29
	v_lshrrev_b32_e32 v41, 4, v0                               // 000000002544: 20520084
	v_lshlrev_b32_e32 v41, 2, v41                              // 000000002548: 24525282
	v_and_b32_e32 v42, 3, v0                                   // 00000000254C: 26540083
	v_add_u32_e32 v41, v42, v41                                // 000000002550: 6852532A
	v_lshlrev_b32_e32 v74, 2, v41                              // 000000002554: 24945282
	v_mov_b32_e32 v75, v74                                     // 000000002558: 7E96034A
	s_mul_i32 s60, s2, 64                                      // 00000000255C: 923CC002
	s_add_u32 s32, s60, s32                                    // 000000002560: 8020203C
	s_addc_u32 s33, 0, s33                                     // 000000002564: 82212180
	s_add_u32 s36, s60, s36                                    // 000000002568: 8024243C
	s_addc_u32 s37, 0, s37                                     // 00000000256C: 82252580
	s_mul_i32 s60, s2, s76                                     // 000000002570: 923C4C02
	s_mul_i32 s61, s84, s75                                    // 000000002574: 923D4B54
	s_add_u32 s60, s60, s61                                    // 000000002578: 803C3D3C
	s_add_u32 s8, s60, s8                                      // 00000000257C: 8008083C
	s_addc_u32 s9, 0, s9                                       // 000000002580: 82090980
	s_mul_i32 s60, s7, 0x100                                   // 000000002584: 923CFF07 00000100
	v_lshlrev_b32_e32 v8, 2, v0                                // 00000000258C: 24100082
	v_add_u32_e64 v8, v8, s60                                  // 000000002590: D1340008 00007908
	s_mov_b32 s70, 0                                           // 000000002598: BEC60080
	s_and_b32 s71, s72, 0xffffff00                             // 00000000259C: 8647FF48 FFFFFF00
	s_mov_b32 s42, 0xff00ff00                                  // 0000000025A4: BEAA00FF FF00FF00
	s_mov_b32 s43, 0xff00ff00                                  // 0000000025AC: BEAB00FF FF00FF00
	s_mov_b32 s44, 0xf0f0f0f0                                  // 0000000025B4: BEAC00FF F0F0F0F0
	s_mov_b32 s45, 0xf0f0f0f0                                  // 0000000025BC: BEAD00FF F0F0F0F0
	v_mul_i32_i24_e64 v78, 64, s66                             // 0000000025C4: D106004E 000084C0
	v_mov_b32_e32 v68, s68                                     // 0000000025CC: 7E880244
	v_mov_b32_e32 v9, -1                                       // 0000000025D0: 7E1202C1
	s_mov_b32 s52, 0x7060302                                   // 0000000025D4: BEB400FF 07060302
	s_mov_b32 s53, 0x400                                       // 0000000025DC: BEB500FF 00000400
	s_mov_b32 s54, 0x40100                                     // 0000000025E4: BEB600FF 00040100
	s_mov_b32 s55, 0x4020100                                   // 0000000025EC: BEB700FF 04020100
	v_mov_b32_dpp v9, v9 row_shl:8 row_mask:0xf bank_mask:0xf bound_ctrl:1// 0000000025F4: 7E1202FA FF090809
	s_mov_b32 s6, 0x3fb8aa3b                                   // 0000000025FC: BE8600FF 3FB8AA3B
	v_mov_b32_e32 v14, 0xff800000                              // 000000002604: 7E1C02FF FF800000
	v_mov_b32_e32 v69, 0xff800000                              // 00000000260C: 7E8A02FF FF800000
	v_mov_b32_e32 v63, 0                                       // 000000002614: 7E7E0280
	v_mov_b32_e32 v47, 0                                       // 000000002618: 7E5E0280
	v_mov_b32_e32 v58, 0                                       // 00000000261C: 7E740280
	v_mov_b32_e32 v22, 0xffff0000                              // 000000002620: 7E2C02FF FFFF0000
	v_mov_b32_e32 v23, 0x7fff0000                              // 000000002628: 7E2E02FF 7FFF0000
	v_mov_b32_e32 v24, 0x7fff                                  // 000000002630: 7E3002FF 00007FFF
	v_add_u32_e32 v1, s56, v1                                  // 000000002638: 68020238
	v_and_b32_e32 v10, 15, v0                                  // 00000000263C: 2614008F
	v_lshlrev_b32_e32 v10, 2, v10                              // 000000002640: 24141482
	v_lshlrev_b32_e32 v11, 2, v0                               // 000000002644: 24160082
	s_mul_i32 s60, 0x100, s7                                   // 000000002648: 923C07FF 00000100
	v_add_u32_e32 v11, s60, v11                                // 000000002650: 6816163C
	v_lshrrev_b32_e32 v41, 4, v0                               // 000000002654: 20520084
	v_lshlrev_b32_e32 v42, 6, v41                              // 000000002658: 24545286
	v_and_b32_e32 v41, 15, v0                                  // 00000000265C: 2652008F
	v_lshlrev_b32_e32 v41, 1, v41                              // 000000002660: 24525281
	v_add_u32_e32 v42, v41, v42                                // 000000002664: 68545529
	v_lshlrev_b32_e32 v12, 2, v42                              // 000000002668: 24185482
	v_lshrrev_b32_e32 v41, 5, v0                               // 00000000266C: 20520085
	v_lshlrev_b32_e32 v42, 5, v41                              // 000000002670: 24545285
	v_and_b32_e32 v41, 31, v0                                  // 000000002674: 2652009F
	v_lshrrev_b32_e32 v43, 4, v41                              // 000000002678: 20565284
	v_add_u32_e32 v42, v43, v42                                // 00000000267C: 6854552B
	v_and_b32_e32 v41, 15, v0                                  // 000000002680: 2652008F
	v_lshlrev_b32_e32 v41, 1, v41                              // 000000002684: 24525281
	v_add_u32_e32 v42, v41, v42                                // 000000002688: 68545529
	v_lshlrev_b32_e32 v41, 2, v42                              // 00000000268C: 24525482
	s_mul_i32 s60, 0x100, s7                                   // 000000002690: 923C07FF 00000100
	v_add_u32_e64 v13, v41, s60                                // 000000002698: D134000D 00007929
	v_lshlrev_b32_e32 v6, 4, v0                                // 0000000026A0: 240C0084
	s_mul_i32 s60, s2, s69                                     // 0000000026A4: 923C4502
	s_add_u32 s16, s60, s16                                    // 0000000026A8: 8010103C
	s_addc_u32 s17, 0, s17                                     // 0000000026AC: 82111180
	v_and_b32_e32 v41, 15, v0                                  // 0000000026B0: 2652008F
	v_lshlrev_b32_e32 v7, 4, v41                               // 0000000026B4: 240E5284
	s_mul_i32 s61, s2, s69                                     // 0000000026B8: 923D4502
	s_mul_i32 s60, s7, 0x100                                   // 0000000026BC: 923CFF07 00000100
	s_add_u32 s60, s60, s61                                    // 0000000026C4: 803C3D3C
	s_add_u32 s20, s60, s20                                    // 0000000026C8: 8014143C
	s_addc_u32 s21, 0, s21                                     // 0000000026CC: 82151580
	s_waitcnt vmcnt(2)                                         // 0000000026D0: BF8C0F72
	v_mul_u32_u24_dpp v41, v19, v68 row_newbcast:0 row_mask:0xf bank_mask:0xf// 0000000026D4: 105288FA FF015013
	v_mul_u32_u24_dpp v42, v19, v68 row_newbcast:4 row_mask:0xf bank_mask:0xf// 0000000026DC: 105488FA FF015413
	v_mul_u32_u24_dpp v43, v19, v68 row_newbcast:8 row_mask:0xf bank_mask:0xf// 0000000026E4: 105688FA FF015813
	v_mul_u32_u24_dpp v44, v19, v68 row_newbcast:12 row_mask:0xf bank_mask:0xf// 0000000026EC: 105888FA FF015C13
	v_add_u32_e32 v25, v41, v6                                 // 0000000026F4: 68320D29
	v_add_u32_e32 v26, v42, v6                                 // 0000000026F8: 68340D2A
	v_add_u32_e32 v27, v43, v6                                 // 0000000026FC: 68360D2B
	v_add_u32_e32 v28, v44, v6                                 // 000000002700: 68380D2C
	v_mul_u32_u24_dpp v41, v19, v68 row_newbcast:1 row_mask:0xf bank_mask:0xf// 000000002704: 105288FA FF015113
	v_mul_u32_u24_dpp v42, v19, v68 row_newbcast:5 row_mask:0xf bank_mask:0xf// 00000000270C: 105488FA FF015513
	v_mul_u32_u24_dpp v43, v19, v68 row_newbcast:9 row_mask:0xf bank_mask:0xf// 000000002714: 105688FA FF015913
	v_mul_u32_u24_dpp v44, v19, v68 row_newbcast:13 row_mask:0xf bank_mask:0xf// 00000000271C: 105888FA FF015D13
	v_add_u32_e32 v33, v41, v7                                 // 000000002724: 68420F29
	v_add_u32_e32 v34, v42, v7                                 // 000000002728: 68440F2A
	v_add_u32_e32 v35, v43, v7                                 // 00000000272C: 68460F2B
	v_add_u32_e32 v36, v44, v7                                 // 000000002730: 68480F2C
	v_mul_u32_u24_dpp v41, v19, v78 quad_perm:[0,0,0,0] row_mask:0xf bank_mask:0xf// 000000002734: 10529CFA FF000013
	v_add_u32_e32 v2, v41, v74                                 // 00000000273C: 68049529
	v_mul_u32_u24_dpp v41, v19, v78 quad_perm:[0,0,0,0] row_mask:0xf bank_mask:0xf// 000000002740: 10529CFA FF000013
	v_add_u32_e32 v70, v41, v75                                // 000000002748: 688C9729
	buffer_load_dword v52, v2, s[32:35], 0 offen               // 00000000274C: E0501000 80083402
	buffer_load_dwordx4 a[0:3], v25, s[16:19], 0 offen         // 000000002754: E05C1000 80840019
	buffer_load_dwordx4 a[4:7], v25, s[16:19], 0 offen offset:1024// 00000000275C: E05C1400 80840419
	buffer_load_dwordx4 a[8:11], v26, s[16:19], 0 offen        // 000000002764: E05C1000 8084081A
	buffer_load_dwordx4 a[12:15], v26, s[16:19], 0 offen offset:1024// 00000000276C: E05C1400 80840C1A
	buffer_load_dwordx4 a[16:19], v27, s[16:19], 0 offen       // 000000002774: E05C1000 8084101B
	buffer_load_dwordx4 a[20:23], v27, s[16:19], 0 offen offset:1024// 00000000277C: E05C1400 8084141B
	buffer_load_dwordx4 a[24:27], v28, s[16:19], 0 offen       // 000000002784: E05C1000 8084181C
	buffer_load_dwordx4 a[28:31], v28, s[16:19], 0 offen offset:1024// 00000000278C: E05C1400 80841C1C
	buffer_load_dword v72, v70, s[36:39], 0 offen              // 000000002794: E0501000 80094846
	buffer_load_dwordx4 a[64:67], v33, s[20:23], 0 offen       // 00000000279C: E05C1000 80854021
	buffer_load_dwordx4 a[68:71], v34, s[20:23], 0 offen       // 0000000027A4: E05C1000 80854422
	buffer_load_dwordx4 a[72:75], v35, s[20:23], 0 offen       // 0000000027AC: E05C1000 80854823
	buffer_load_dwordx4 a[76:79], v36, s[20:23], 0 offen       // 0000000027B4: E05C1000 80854C24
	buffer_load_dwordx4 a[80:83], v33, s[20:23], 0 offen offset:1024// 0000000027BC: E05C1400 80855021
	buffer_load_dwordx4 a[84:87], v34, s[20:23], 0 offen offset:1024// 0000000027C4: E05C1400 80855422
	buffer_load_dwordx4 a[88:91], v35, s[20:23], 0 offen offset:1024// 0000000027CC: E05C1400 80855823
	buffer_load_dwordx4 a[92:95], v36, s[20:23], 0 offen offset:1024// 0000000027D4: E05C1400 80855C24
	v_lshrrev_b32_e32 v41, 4, v0                               // 0000000027DC: 20520084
	v_lshlrev_b32_e32 v42, 1, v41                              // 0000000027E0: 24545281
	v_and_b32_e32 v41, 15, v0                                  // 0000000027E4: 2652008F
	v_mul_i32_i24_e32 v41, 0x42, v41                           // 0000000027E8: 0C5252FF 00000042
	v_add_u32_e32 v42, v41, v42                                // 0000000027F0: 68545529
	v_lshlrev_b32_e32 v4, 2, v42                               // 0000000027F4: 24085482
	s_mul_i32 s60, s7, 32                                      // 0000000027F8: 923CA007
	v_add_u32_e32 v4, s60, v4                                  // 0000000027FC: 6808083C
	s_waitcnt vmcnt(16) lgkmcnt(0)                             // 000000002800: BF8C4070
	s_barrier                                                  // 000000002804: BF8A0000
	ds_read_b64 v[96:97], v4                                   // 000000002808: D8EC0000 60000004
	ds_read_b64 v[100:101], v4 offset:128                      // 000000002810: D8EC0080 64000004
	s_waitcnt lgkmcnt(0)                                       // 000000002818: BF8CC07F
	v_and_b32_e32 v41, 0xffff, v96                             // 00000000281C: 2652C0FF 0000FFFF
	v_lshrrev_b32_e32 v42, 16, v96                             // 000000002824: 2054C090
	v_and_b32_e32 v43, 0xffff, v97                             // 000000002828: 2656C2FF 0000FFFF
	v_lshrrev_b32_e32 v44, 16, v97                             // 000000002830: 2058C290
	v_cvt_f32_f16_e32 v96, v41                                 // 000000002834: 7EC01729
	v_cvt_f32_f16_e32 v97, v42                                 // 000000002838: 7EC2172A
	v_cvt_f32_f16_e32 v98, v43                                 // 00000000283C: 7EC4172B
	v_cvt_f32_f16_e32 v99, v44                                 // 000000002840: 7EC6172C
	v_and_b32_e32 v41, 0xffff, v100                            // 000000002844: 2652C8FF 0000FFFF
	v_lshrrev_b32_e32 v42, 16, v100                            // 00000000284C: 2054C890
	v_and_b32_e32 v43, 0xffff, v101                            // 000000002850: 2656CAFF 0000FFFF
	v_lshrrev_b32_e32 v44, 16, v101                            // 000000002858: 2058CA90
	v_cvt_f32_f16_e32 v100, v41                                // 00000000285C: 7EC81729
	v_cvt_f32_f16_e32 v101, v42                                // 000000002860: 7ECA172A
	v_cvt_f32_f16_e32 v102, v43                                // 000000002864: 7ECC172B
	v_cvt_f32_f16_e32 v103, v44                                // 000000002868: 7ECE172C
	v_mov_b32_e32 v62, 0x358637bd                              // 00000000286C: 7E7C02FF 358637BD
	v_max3_f32 v62, |v96|, |v97|, v62                          // 000000002874: D1D3033E 04FAC360
	v_max3_f32 v62, |v98|, |v99|, v62                          // 00000000287C: D1D3033E 04FAC762
	v_max3_f32 v62, |v100|, |v101|, v62                        // 000000002884: D1D3033E 04FACB64
	v_max3_f32 v62, |v102|, |v103|, v62                        // 00000000288C: D1D3033E 04FACF66
	ds_write_b32 v11, v62 offset:16896                         // 000000002894: D81A4200 00003E0B
	s_waitcnt lgkmcnt(0)                                       // 00000000289C: BF8CC07F
	s_barrier                                                  // 0000000028A0: BF8A0000
	ds_read_b32 v80, v10 offset:16896                          // 0000000028A4: D86C4200 5000000A
	ds_read_b32 v81, v10 offset:16960                          // 0000000028AC: D86C4240 5100000A
	ds_read_b32 v82, v10 offset:17024                          // 0000000028B4: D86C4280 5200000A
	ds_read_b32 v83, v10 offset:17088                          // 0000000028BC: D86C42C0 5300000A
	ds_read_b32 v84, v10 offset:17152                          // 0000000028C4: D86C4300 5400000A
	ds_read_b32 v85, v10 offset:17216                          // 0000000028CC: D86C4340 5500000A
	ds_read_b32 v86, v10 offset:17280                          // 0000000028D4: D86C4380 5600000A
	ds_read_b32 v87, v10 offset:17344                          // 0000000028DC: D86C43C0 5700000A
	ds_read_b32 v88, v10 offset:17408                          // 0000000028E4: D86C4400 5800000A
	ds_read_b32 v89, v10 offset:17472                          // 0000000028EC: D86C4440 5900000A
	ds_read_b32 v90, v10 offset:17536                          // 0000000028F4: D86C4480 5A00000A
	ds_read_b32 v91, v10 offset:17600                          // 0000000028FC: D86C44C0 5B00000A
	ds_read_b32 v92, v10 offset:17664                          // 000000002904: D86C4500 5C00000A
	ds_read_b32 v93, v10 offset:17728                          // 00000000290C: D86C4540 5D00000A
	ds_read_b32 v94, v10 offset:17792                          // 000000002914: D86C4580 5E00000A
	ds_read_b32 v95, v10 offset:17856                          // 00000000291C: D86C45C0 5F00000A
	s_waitcnt lgkmcnt(0)                                       // 000000002924: BF8CC07F
	v_max3_f32 v62, |v80|, |v81|, v62                          // 000000002928: D1D3033E 04FAA350
	v_max3_f32 v62, |v82|, |v83|, v62                          // 000000002930: D1D3033E 04FAA752
	v_max3_f32 v62, |v84|, |v85|, v62                          // 000000002938: D1D3033E 04FAAB54
	v_max3_f32 v62, |v86|, |v87|, v62                          // 000000002940: D1D3033E 04FAAF56
	v_max3_f32 v62, |v88|, |v89|, v62                          // 000000002948: D1D3033E 04FAB358
	v_max3_f32 v62, |v90|, |v91|, v62                          // 000000002950: D1D3033E 04FAB75A
	v_max3_f32 v62, |v92|, |v93|, v62                          // 000000002958: D1D3033E 04FABB5C
	v_max3_f32 v62, |v94|, |v95|, v62                          // 000000002960: D1D3033E 04FABF5E
	v_rcp_f32_e32 v62, v62                                     // 000000002968: 7E7C453E
	s_nop 1                                                    // 00000000296C: BF800001
	v_mul_f32_e32 v62, 0x42fe0000, v62                         // 000000002970: 0A7C7CFF 42FE0000
	v_mul_f32_e32 v96, v62, v96                                // 000000002978: 0AC0C13E
	v_mul_f32_e32 v97, v62, v97                                // 00000000297C: 0AC2C33E
	v_mul_f32_e32 v98, v62, v98                                // 000000002980: 0AC4C53E
	v_mul_f32_e32 v99, v62, v99                                // 000000002984: 0AC6C73E
	v_mul_f32_e32 v100, v62, v100                              // 000000002988: 0AC8C93E
	v_mul_f32_e32 v101, v62, v101                              // 00000000298C: 0ACACB3E
	v_mul_f32_e32 v102, v62, v102                              // 000000002990: 0ACCCD3E
	v_mul_f32_e32 v103, v62, v103                              // 000000002994: 0ACECF3E
	v_cvt_i32_f32_e32 v96, v96                                 // 000000002998: 7EC01160
	v_cvt_i32_f32_e32 v97, v97                                 // 00000000299C: 7EC21161
	v_cvt_i32_f32_e32 v98, v98                                 // 0000000029A0: 7EC41162
	v_cvt_i32_f32_e32 v99, v99                                 // 0000000029A4: 7EC61163
	v_cvt_i32_f32_e32 v100, v100                               // 0000000029A8: 7EC81164
	v_cvt_i32_f32_e32 v101, v101                               // 0000000029AC: 7ECA1165
	v_cvt_i32_f32_e32 v102, v102                               // 0000000029B0: 7ECC1166
	v_cvt_i32_f32_e32 v103, v103                               // 0000000029B4: 7ECE1167
	v_rcp_f32_e32 v54, v62                                     // 0000000029B8: 7E6C453E
	v_perm_b32 v96, v97, v96, s53                              // 0000000029BC: D1ED0060 00D6C161
	v_perm_b32 v96, v98, v96, s54                              // 0000000029C4: D1ED0060 00DAC162
	v_perm_b32 v96, v99, v96, s55                              // 0000000029CC: D1ED0060 00DEC163
	v_perm_b32 v97, v101, v100, s53                            // 0000000029D4: D1ED0061 00D6C965
	v_perm_b32 v97, v102, v97, s54                             // 0000000029DC: D1ED0061 00DAC366
	v_perm_b32 v97, v103, v97, s55                             // 0000000029E4: D1ED0061 00DEC367
	ds_write_b32 v13, v96 offset:25088                         // 0000000029EC: D81A6200 0000600D
	ds_write_b32 v13, v97 offset:26112                         // 0000000029F4: D81A6600 0000610D
	s_waitcnt lgkmcnt(0)                                       // 0000000029FC: BF8CC07F
	s_barrier                                                  // 000000002A00: BF8A0000
	v_and_b32_e32 v54, v9, v54                                 // 000000002A04: 266C6D09
	ds_read_b64 v[96:97], v12 offset:25088                     // 000000002A08: D8EC6200 6000000C
	ds_read_b64 v[98:99], v12 offset:25216                     // 000000002A10: D8EC6280 6200000C
	ds_read_b64 v[100:101], v12 offset:26112                   // 000000002A18: D8EC6600 6400000C
	ds_read_b64 v[102:103], v12 offset:26240                   // 000000002A20: D8EC6680 6600000C
	v_mov_b32_e32 v224, 0                                      // 000000002A28: 7FC00280
	v_mov_b32_e32 v225, 0                                      // 000000002A2C: 7FC20280
	v_mov_b32_e32 v226, 0                                      // 000000002A30: 7FC40280
	v_mov_b32_e32 v227, 0                                      // 000000002A34: 7FC60280
	v_mov_b32_e32 v192, 0                                      // 000000002A38: 7F800280
	v_mov_b32_e32 v193, 0                                      // 000000002A3C: 7F820280
	v_mov_b32_e32 v194, 0                                      // 000000002A40: 7F840280
	v_mov_b32_e32 v195, 0                                      // 000000002A44: 7F860280
	v_mov_b32_e32 v196, 0                                      // 000000002A48: 7F880280
	v_mov_b32_e32 v197, 0                                      // 000000002A4C: 7F8A0280
	v_mov_b32_e32 v198, 0                                      // 000000002A50: 7F8C0280
	v_mov_b32_e32 v199, 0                                      // 000000002A54: 7F8E0280
	v_or_b32_dpp v54, v54, v54 row_shr:8 row_mask:0xf bank_mask:0xf bound_ctrl:1// 000000002A58: 286C6CFA FF091836
	s_waitcnt vmcnt(8) lgkmcnt(0)                              // 000000002A60: BF8C0078
	s_barrier                                                  // 000000002A64: BF8A0000
	s_cmp_lt_u32 s73, 16                                       // 000000002A68: BF0A9049
	s_cbranch_scc1 label_09EB                                  // 000000002A6C: BF8507CF
	s_cmp_lt_i32 s7, 2                                         // 000000002A70: BF048207
	s_cbranch_scc0 label_0606                                  // 000000002A74: BF8403E8

0000000000002a78 <label_021E>:
	s_waitcnt vmcnt(8) lgkmcnt(0)                              // 000000002A78: BF8C0078
	v_mul_u32_u24_dpp v41, v20, v68 row_newbcast:0 row_mask:0xf bank_mask:0xf// 000000002A7C: 105288FA FF015014
	v_mul_u32_u24_dpp v42, v20, v68 row_newbcast:4 row_mask:0xf bank_mask:0xf// 000000002A84: 105488FA FF015414
	v_mul_u32_u24_dpp v43, v20, v68 row_newbcast:8 row_mask:0xf bank_mask:0xf// 000000002A8C: 105688FA FF015814
	v_mul_u32_u24_dpp v44, v20, v68 row_newbcast:12 row_mask:0xf bank_mask:0xf// 000000002A94: 105888FA FF015C14
	v_add_u32_e32 v29, v41, v6                                 // 000000002A9C: 683A0D29
	v_add_u32_e32 v30, v42, v6                                 // 000000002AA0: 683C0D2A
	v_add_u32_e32 v31, v43, v6                                 // 000000002AA4: 683E0D2B
	v_add_u32_e32 v32, v44, v6                                 // 000000002AA8: 68400D2C
	v_mul_u32_u24_dpp v41, v20, v78 quad_perm:[0,0,0,0] row_mask:0xf bank_mask:0xf// 000000002AAC: 10529CFA FF000014
	v_add_u32_e32 v3, v41, v74                                 // 000000002AB4: 68069529
	v_mul_u32_u24_dpp v41, v20, v78 quad_perm:[0,0,0,0] row_mask:0xf bank_mask:0xf// 000000002AB8: 10529CFA FF000014
	v_add_u32_e32 v71, v41, v75                                // 000000002AC0: 688E9729
	v_mfma_i32_16x16x32_i8 v[128:131], a[0:1], v[96:97], 0     // 000000002AC4: D3D70080 0A02C100
	v_mfma_i32_16x16x32_i8 v[128:131], a[2:3], v[98:99], v[128:131]// 000000002ACC: D3D70080 0E02C502
	buffer_load_dwordx4 a[32:35], v29, s[16:19], 0 offen       // 000000002AD4: E05C1000 8084201D
	v_mfma_i32_16x16x32_i8 v[128:131], a[4:5], v[100:101], v[128:131]// 000000002ADC: D3D70080 0E02C904
	v_mfma_i32_16x16x32_i8 v[128:131], a[6:7], v[102:103], v[128:131]// 000000002AE4: D3D70080 0E02CD06
	buffer_load_dword v19, v1, s[24:27], 0 offen               // 000000002AEC: E0501000 80061301
	v_mfma_i32_16x16x32_i8 v[132:135], a[8:9], v[96:97], 0     // 000000002AF4: D3D70084 0A02C108
	v_mfma_i32_16x16x32_i8 v[132:135], a[10:11], v[98:99], v[132:135]// 000000002AFC: D3D70084 0E12C50A
	buffer_load_dwordx4 a[36:39], v29, s[16:19], 0 offen offset:1024// 000000002B04: E05C1400 8084241D
	v_mfma_i32_16x16x32_i8 v[132:135], a[12:13], v[100:101], v[132:135]// 000000002B0C: D3D70084 0E12C90C
	v_mfma_i32_16x16x32_i8 v[132:135], a[14:15], v[102:103], v[132:135]// 000000002B14: D3D70084 0E12CD0E
	v_mfma_i32_16x16x32_i8 v[136:139], a[16:17], v[96:97], 0   // 000000002B1C: D3D70088 0A02C110
	v_mfma_i32_16x16x32_i8 v[136:139], a[18:19], v[98:99], v[136:139]// 000000002B24: D3D70088 0E22C512
	buffer_load_dwordx4 a[40:43], v30, s[16:19], 0 offen       // 000000002B2C: E05C1000 8084281E
	v_mfma_i32_16x16x32_i8 v[136:139], a[20:21], v[100:101], v[136:139]// 000000002B34: D3D70088 0E22C914
	v_mfma_i32_16x16x32_i8 v[136:139], a[22:23], v[102:103], v[136:139]// 000000002B3C: D3D70088 0E22CD16
	v_mfma_i32_16x16x32_i8 v[140:143], a[24:25], v[96:97], 0   // 000000002B44: D3D7008C 0A02C118
	v_mfma_i32_16x16x32_i8 v[140:143], a[26:27], v[98:99], v[140:143]// 000000002B4C: D3D7008C 0E32C51A
	buffer_load_dwordx4 a[44:47], v30, s[16:19], 0 offen offset:1024// 000000002B54: E05C1400 80842C1E
	v_mfma_i32_16x16x32_i8 v[140:143], a[28:29], v[100:101], v[140:143]// 000000002B5C: D3D7008C 0E32C91C
	v_mfma_i32_16x16x32_i8 v[140:143], a[30:31], v[102:103], v[140:143]// 000000002B64: D3D7008C 0E32CD1E
	buffer_load_dword v53, v3, s[32:35], 0 offen               // 000000002B6C: E0501000 80083503
	v_mov_b32_dpp v41, v52 row_shr:4 row_mask:0xf bank_mask:0xf// 000000002B74: 7E5202FA FF011434
	v_mov_b32_dpp v42, v52 row_shl:4 row_mask:0xf bank_mask:0xf// 000000002B7C: 7E5402FA FF010434
	v_cndmask_b32_e64 v248, v52, v41, s[44:45]                 // 000000002B84: D10000F8 00B25334
	v_cndmask_b32_e64 v249, v42, v52, s[44:45]                 // 000000002B8C: D10000F9 00B2692A
	v_mov_b32_dpp v41, v72 row_shr:4 row_mask:0xf bank_mask:0xf// 000000002B94: 7E5202FA FF011448
	v_mov_b32_dpp v42, v72 row_shl:4 row_mask:0xf bank_mask:0xf// 000000002B9C: 7E5402FA FF010448
	v_cndmask_b32_e64 v252, v72, v41, s[44:45]                 // 000000002BA4: D10000FC 00B25348
	v_cndmask_b32_e64 v253, v42, v72, s[44:45]                 // 000000002BAC: D10000FD 00B2912A
	v_or_b32_dpp v128, v136, v128 row_shr:8 row_mask:0xf bank_mask:0xf bound_ctrl:1// 000000002BB4: 290100FA FF091888
	v_or_b32_dpp v129, v137, v129 row_shr:8 row_mask:0xf bank_mask:0xf bound_ctrl:1// 000000002BBC: 290302FA FF091889
	v_or_b32_dpp v130, v138, v130 row_shr:8 row_mask:0xf bank_mask:0xf bound_ctrl:1// 000000002BC4: 290504FA FF09188A
	v_or_b32_dpp v131, v139, v131 row_shr:8 row_mask:0xf bank_mask:0xf bound_ctrl:1// 000000002BCC: 290706FA FF09188B
	v_or_b32_dpp v132, v140, v132 row_shr:8 row_mask:0xf bank_mask:0xf bound_ctrl:1// 000000002BD4: 290908FA FF09188C
	v_or_b32_dpp v133, v141, v133 row_shr:8 row_mask:0xf bank_mask:0xf bound_ctrl:1// 000000002BDC: 290B0AFA FF09188D
	v_or_b32_dpp v134, v142, v134 row_shr:8 row_mask:0xf bank_mask:0xf bound_ctrl:1// 000000002BE4: 290D0CFA FF09188E
	v_or_b32_dpp v135, v143, v135 row_shr:8 row_mask:0xf bank_mask:0xf bound_ctrl:1// 000000002BEC: 290F0EFA FF09188F
	buffer_load_dword v73, v71, s[36:39], 0 offen              // 000000002BF4: E0501000 80094947
	v_cvt_f32_i32_e32 v128, v128                               // 000000002BFC: 7F000B80
	v_cvt_f32_i32_e32 v129, v129                               // 000000002C00: 7F020B81
	v_cvt_f32_i32_e32 v130, v130                               // 000000002C04: 7F040B82
	v_cvt_f32_i32_e32 v131, v131                               // 000000002C08: 7F060B83
	v_cvt_f32_i32_e32 v132, v132                               // 000000002C0C: 7F080B84
	v_cvt_f32_i32_e32 v133, v133                               // 000000002C10: 7F0A0B85
	v_cvt_f32_i32_e32 v134, v134                               // 000000002C14: 7F0C0B86
	v_cvt_f32_i32_e32 v135, v135                               // 000000002C18: 7F0E0B87
	v_mul_f32_e32 v128, v54, v128                              // 000000002C1C: 0B010136
	v_mul_f32_e32 v129, v54, v129                              // 000000002C20: 0B030336
	v_mul_f32_e32 v130, v54, v130                              // 000000002C24: 0B050536
	v_mul_f32_e32 v131, v54, v131                              // 000000002C28: 0B070736
	v_mul_f32_e32 v132, v54, v132                              // 000000002C2C: 0B090936
	v_mul_f32_e32 v133, v54, v133                              // 000000002C30: 0B0B0B36
	v_mul_f32_e32 v134, v54, v134                              // 000000002C34: 0B0D0D36
	v_mul_f32_e32 v135, v54, v135                              // 000000002C38: 0B0F0F36
	buffer_load_dwordx4 a[48:51], v31, s[16:19], 0 offen       // 000000002C3C: E05C1000 8084301F
	v_mul_f32_dpp v128, v248, v128 quad_perm:[0,0,0,0] row_mask:0xf bank_mask:0xf// 000000002C44: 0B0100FA FF0000F8
	v_mul_f32_dpp v129, v248, v129 quad_perm:[1,1,1,1] row_mask:0xf bank_mask:0xf// 000000002C4C: 0B0302FA FF0055F8
	v_mul_f32_dpp v130, v248, v130 quad_perm:[2,2,2,2] row_mask:0xf bank_mask:0xf// 000000002C54: 0B0504FA FF00AAF8
	v_mul_f32_dpp v131, v248, v131 quad_perm:[3,3,3,3] row_mask:0xf bank_mask:0xf// 000000002C5C: 0B0706FA FF00FFF8
	v_mul_f32_dpp v132, v249, v132 quad_perm:[0,0,0,0] row_mask:0xf bank_mask:0xf// 000000002C64: 0B0908FA FF0000F9
	v_mul_f32_dpp v133, v249, v133 quad_perm:[1,1,1,1] row_mask:0xf bank_mask:0xf// 000000002C6C: 0B0B0AFA FF0055F9
	v_mul_f32_dpp v134, v249, v134 quad_perm:[2,2,2,2] row_mask:0xf bank_mask:0xf// 000000002C74: 0B0D0CFA FF00AAF9
	v_mul_f32_dpp v135, v249, v135 quad_perm:[3,3,3,3] row_mask:0xf bank_mask:0xf// 000000002C7C: 0B0F0EFA FF00FFF9
	buffer_load_dwordx4 a[52:55], v31, s[16:19], 0 offen offset:1024// 000000002C84: E05C1400 8084341F
	v_mov_b32_e32 v62, v128                                    // 000000002C8C: 7E7C0380
	v_max3_f32 v62, v128, v129, v62                            // 000000002C90: D1D3003E 04FB0380
	v_max3_f32 v62, v130, v131, v62                            // 000000002C98: D1D3003E 04FB0782
	v_max3_f32 v62, v132, v133, v62                            // 000000002CA0: D1D3003E 04FB0B84
	v_max3_f32 v62, v134, v135, v62                            // 000000002CA8: D1D3003E 04FB0F86
	ds_write_b32 v11, v62 offset:16896                         // 000000002CB0: D81A4200 00003E0B
	buffer_load_dwordx4 a[56:59], v32, s[16:19], 0 offen       // 000000002CB8: E05C1000 80843820
	v_mul_u32_u24_dpp v41, v20, v68 row_newbcast:1 row_mask:0xf bank_mask:0xf// 000000002CC0: 105288FA FF015114
	v_mul_u32_u24_dpp v42, v20, v68 row_newbcast:5 row_mask:0xf bank_mask:0xf// 000000002CC8: 105488FA FF015514
	v_mul_u32_u24_dpp v43, v20, v68 row_newbcast:9 row_mask:0xf bank_mask:0xf// 000000002CD0: 105688FA FF015914
	v_mul_u32_u24_dpp v44, v20, v68 row_newbcast:13 row_mask:0xf bank_mask:0xf// 000000002CD8: 105888FA FF015D14
	v_add_u32_e32 v37, v41, v7                                 // 000000002CE0: 684A0F29
	v_add_u32_e32 v38, v42, v7                                 // 000000002CE4: 684C0F2A
	v_add_u32_e32 v39, v43, v7                                 // 000000002CE8: 684E0F2B
	v_add_u32_e32 v40, v44, v7                                 // 000000002CEC: 68500F2C
	s_waitcnt lgkmcnt(0)                                       // 000000002CF0: BF8CC07F
	s_barrier                                                  // 000000002CF4: BF8A0000
	ds_read_b32 v80, v10 offset:16896                          // 000000002CF8: D86C4200 5000000A
	ds_read_b32 v81, v10 offset:16960                          // 000000002D00: D86C4240 5100000A
	ds_read_b32 v82, v10 offset:17024                          // 000000002D08: D86C4280 5200000A
	ds_read_b32 v83, v10 offset:17088                          // 000000002D10: D86C42C0 5300000A
	ds_read_b32 v84, v10 offset:17152                          // 000000002D18: D86C4300 5400000A
	ds_read_b32 v85, v10 offset:17216                          // 000000002D20: D86C4340 5500000A
	ds_read_b32 v86, v10 offset:17280                          // 000000002D28: D86C4380 5600000A
	ds_read_b32 v87, v10 offset:17344                          // 000000002D30: D86C43C0 5700000A
	ds_read_b32 v88, v10 offset:17408                          // 000000002D38: D86C4400 5800000A
	ds_read_b32 v89, v10 offset:17472                          // 000000002D40: D86C4440 5900000A
	ds_read_b32 v90, v10 offset:17536                          // 000000002D48: D86C4480 5A00000A
	ds_read_b32 v91, v10 offset:17600                          // 000000002D50: D86C44C0 5B00000A
	ds_read_b32 v92, v10 offset:17664                          // 000000002D58: D86C4500 5C00000A
	ds_read_b32 v93, v10 offset:17728                          // 000000002D60: D86C4540 5D00000A
	ds_read_b32 v94, v10 offset:17792                          // 000000002D68: D86C4580 5E00000A
	ds_read_b32 v95, v10 offset:17856                          // 000000002D70: D86C45C0 5F00000A
	buffer_load_dwordx4 a[60:63], v32, s[16:19], 0 offen offset:1024// 000000002D78: E05C1400 80843C20
	v_mul_f32_e32 v224, v63, v224                              // 000000002D80: 0BC1C13F
	v_mul_f32_e32 v225, v63, v225                              // 000000002D84: 0BC3C33F
	v_mul_f32_e32 v226, v63, v226                              // 000000002D88: 0BC5C53F
	v_mul_f32_e32 v227, v63, v227                              // 000000002D8C: 0BC7C73F
	v_or_b32_dpp v192, v196, v192 row_shr:8 row_mask:0xf bank_mask:0xf bound_ctrl:1// 000000002D90: 298180FA FF0918C4
	v_or_b32_dpp v193, v197, v193 row_shr:8 row_mask:0xf bank_mask:0xf bound_ctrl:1// 000000002D98: 298382FA FF0918C5
	v_or_b32_dpp v194, v198, v194 row_shr:8 row_mask:0xf bank_mask:0xf bound_ctrl:1// 000000002DA0: 298584FA FF0918C6
	v_or_b32_dpp v195, v199, v195 row_shr:8 row_mask:0xf bank_mask:0xf bound_ctrl:1// 000000002DA8: 298786FA FF0918C7
	s_waitcnt lgkmcnt(0)                                       // 000000002DB0: BF8CC07F
	v_max3_f32 v62, v80, v81, v62                              // 000000002DB4: D1D3003E 04FAA350
	v_max3_f32 v62, v82, v83, v62                              // 000000002DBC: D1D3003E 04FAA752
	v_max3_f32 v62, v84, v85, v62                              // 000000002DC4: D1D3003E 04FAAB54
	v_max3_f32 v62, v86, v87, v62                              // 000000002DCC: D1D3003E 04FAAF56
	v_max3_f32 v62, v88, v89, v62                              // 000000002DD4: D1D3003E 04FAB358
	v_max3_f32 v62, v90, v91, v62                              // 000000002DDC: D1D3003E 04FAB75A
	v_max3_f32 v62, v92, v93, v62                              // 000000002DE4: D1D3003E 04FABB5C
	v_max3_f32 v62, v94, v95, v62                              // 000000002DEC: D1D3003E 04FABF5E
	buffer_load_dwordx4 a[96:99], v37, s[20:23], 0 offen       // 000000002DF4: E05C1000 80856025
	v_cmp_eq_u32_e64 s[40:41], v69, v14                        // 000000002DFC: D0CA0028 00021D45
	s_nop 1                                                    // 000000002E04: BF800001
	v_mov_b32_dpp v41, v62 row_ror:8 row_mask:0xf bank_mask:0xf// 000000002E08: 7E5202FA FF01283E
	v_max_f32_e32 v62, v62, v41                                // 000000002E10: 167C533E
	v_max_f32_e32 v18, v62, v14                                // 000000002E14: 16241D3E
	v_mul_f32_e32 v67, s64, v18                                // 000000002E18: 0A862440
	v_fma_f32 v128, v128, s64, -v67                            // 000000002E1C: D1CB0080 850C8180
	v_fma_f32 v129, v129, s64, -v67                            // 000000002E24: D1CB0081 850C8181
	v_fma_f32 v130, v130, s64, -v67                            // 000000002E2C: D1CB0082 850C8182
	v_fma_f32 v131, v131, s64, -v67                            // 000000002E34: D1CB0083 850C8183
	v_fma_f32 v132, v132, s64, -v67                            // 000000002E3C: D1CB0084 850C8184
	v_fma_f32 v133, v133, s64, -v67                            // 000000002E44: D1CB0085 850C8185
	v_fma_f32 v134, v134, s64, -v67                            // 000000002E4C: D1CB0086 850C8186
	v_fma_f32 v135, v135, s64, -v67                            // 000000002E54: D1CB0087 850C8187
	buffer_load_dwordx4 a[100:103], v38, s[20:23], 0 offen     // 000000002E5C: E05C1000 80856426
	v_exp_f32_e32 v128, v128                                   // 000000002E64: 7F004180
	v_exp_f32_e32 v129, v129                                   // 000000002E68: 7F024181
	v_exp_f32_e32 v130, v130                                   // 000000002E6C: 7F044182
	v_exp_f32_e32 v131, v131                                   // 000000002E70: 7F064183
	v_exp_f32_e32 v132, v132                                   // 000000002E74: 7F084184
	v_exp_f32_e32 v133, v133                                   // 000000002E78: 7F0A4185
	v_exp_f32_e32 v134, v134                                   // 000000002E7C: 7F0C4186
	v_exp_f32_e32 v135, v135                                   // 000000002E80: 7F0E4187
	buffer_load_dwordx4 a[104:107], v39, s[20:23], 0 offen     // 000000002E84: E05C1000 80856827
	v_mul_f32_dpp v240, v252, v128 quad_perm:[0,0,0,0] row_mask:0xf bank_mask:0xf// 000000002E8C: 0BE100FA FF0000FC
	v_mul_f32_dpp v241, v252, v129 quad_perm:[1,1,1,1] row_mask:0xf bank_mask:0xf// 000000002E94: 0BE302FA FF0055FC
	v_mul_f32_dpp v242, v252, v130 quad_perm:[2,2,2,2] row_mask:0xf bank_mask:0xf// 000000002E9C: 0BE504FA FF00AAFC
	v_mul_f32_dpp v243, v252, v131 quad_perm:[3,3,3,3] row_mask:0xf bank_mask:0xf// 000000002EA4: 0BE706FA FF00FFFC
	v_mul_f32_dpp v244, v253, v132 quad_perm:[0,0,0,0] row_mask:0xf bank_mask:0xf// 000000002EAC: 0BE908FA FF0000FD
	v_mul_f32_dpp v245, v253, v133 quad_perm:[1,1,1,1] row_mask:0xf bank_mask:0xf// 000000002EB4: 0BEB0AFA FF0055FD
	v_mul_f32_dpp v246, v253, v134 quad_perm:[2,2,2,2] row_mask:0xf bank_mask:0xf// 000000002EBC: 0BED0CFA FF00AAFD
	v_mul_f32_dpp v247, v253, v135 quad_perm:[3,3,3,3] row_mask:0xf bank_mask:0xf// 000000002EC4: 0BEF0EFA FF00FFFD
	v_mov_b32_e32 v62, 0x358637bd                              // 000000002ECC: 7E7C02FF 358637BD
	v_max3_f32 v62, |v240|, |v241|, v62                        // 000000002ED4: D1D3033E 04FBE3F0
	v_max3_f32 v62, |v242|, |v243|, v62                        // 000000002EDC: D1D3033E 04FBE7F2
	v_max3_f32 v62, |v244|, |v245|, v62                        // 000000002EE4: D1D3033E 04FBEBF4
	v_max3_f32 v62, |v246|, |v247|, v62                        // 000000002EEC: D1D3033E 04FBEFF6
	buffer_load_dwordx4 a[108:111], v40, s[20:23], 0 offen     // 000000002EF4: E05C1000 80856C28
	ds_write_b32 v11, v62 offset:20992                         // 000000002EFC: D81A5200 00003E0B
	v_sub_f32_e32 v63, v14, v18                                // 000000002F04: 047E250E
	v_cndmask_b32_e64 v63, v63, 0, s[40:41]                    // 000000002F08: D100003F 00A1013F
	v_mov_b32_e32 v14, v18                                     // 000000002F10: 7E1C0312
	v_mul_f32_e32 v63, s64, v63                                // 000000002F14: 0A7E7E40
	v_exp_f32_e32 v63, v63                                     // 000000002F18: 7E7E413F
	s_waitcnt lgkmcnt(0)                                       // 000000002F1C: BF8CC07F
	s_barrier                                                  // 000000002F20: BF8A0000
	ds_read_b32 v80, v10 offset:20992                          // 000000002F24: D86C5200 5000000A
	ds_read_b32 v81, v10 offset:21056                          // 000000002F2C: D86C5240 5100000A
	ds_read_b32 v82, v10 offset:21120                          // 000000002F34: D86C5280 5200000A
	ds_read_b32 v83, v10 offset:21184                          // 000000002F3C: D86C52C0 5300000A
	ds_read_b32 v84, v10 offset:21248                          // 000000002F44: D86C5300 5400000A
	ds_read_b32 v85, v10 offset:21312                          // 000000002F4C: D86C5340 5500000A
	ds_read_b32 v86, v10 offset:21376                          // 000000002F54: D86C5380 5600000A
	ds_read_b32 v87, v10 offset:21440                          // 000000002F5C: D86C53C0 5700000A
	ds_read_b32 v88, v10 offset:21504                          // 000000002F64: D86C5400 5800000A
	ds_read_b32 v89, v10 offset:21568                          // 000000002F6C: D86C5440 5900000A
	ds_read_b32 v90, v10 offset:21632                          // 000000002F74: D86C5480 5A00000A
	ds_read_b32 v91, v10 offset:21696                          // 000000002F7C: D86C54C0 5B00000A
	ds_read_b32 v92, v10 offset:21760                          // 000000002F84: D86C5500 5C00000A
	ds_read_b32 v93, v10 offset:21824                          // 000000002F8C: D86C5540 5D00000A
	ds_read_b32 v94, v10 offset:21888                          // 000000002F94: D86C5580 5E00000A
	ds_read_b32 v95, v10 offset:21952                          // 000000002F9C: D86C55C0 5F00000A
	v_mul_f32_e32 v47, v63, v47                                // 000000002FA4: 0A5E5F3F
	v_mov_b32_e32 v51, v128                                    // 000000002FA8: 7E660380
	v_add_f32_e32 v51, v129, v51                               // 000000002FAC: 02666781
	v_add_f32_e32 v51, v130, v51                               // 000000002FB0: 02666782
	v_add_f32_e32 v51, v131, v51                               // 000000002FB4: 02666783
	v_add_f32_e32 v51, v132, v51                               // 000000002FB8: 02666784
	v_add_f32_e32 v51, v133, v51                               // 000000002FBC: 02666785
	v_add_f32_e32 v51, v134, v51                               // 000000002FC0: 02666786
	v_add_f32_e32 v51, v135, v51                               // 000000002FC4: 02666787
	v_add_f32_e32 v47, v51, v47                                // 000000002FC8: 025E5F33
	s_waitcnt lgkmcnt(0)                                       // 000000002FCC: BF8CC07F
	v_max3_f32 v62, |v80|, |v81|, v62                          // 000000002FD0: D1D3033E 04FAA350
	v_max3_f32 v62, |v82|, |v83|, v62                          // 000000002FD8: D1D3033E 04FAA752
	v_max3_f32 v62, |v84|, |v85|, v62                          // 000000002FE0: D1D3033E 04FAAB54
	v_max3_f32 v62, |v86|, |v87|, v62                          // 000000002FE8: D1D3033E 04FAAF56
	v_max3_f32 v62, |v88|, |v89|, v62                          // 000000002FF0: D1D3033E 04FAB358
	v_max3_f32 v62, |v90|, |v91|, v62                          // 000000002FF8: D1D3033E 04FAB75A
	v_max3_f32 v62, |v92|, |v93|, v62                          // 000000003000: D1D3033E 04FABB5C
	v_max3_f32 v62, |v94|, |v95|, v62                          // 000000003008: D1D3033E 04FABF5E
	s_nop 2                                                    // 000000003010: BF800002
	v_mov_b32_dpp v41, v62 row_ror:8 row_mask:0xf bank_mask:0xf// 000000003014: 7E5202FA FF01283E
	v_max_f32_e32 v62, v62, v41                                // 00000000301C: 167C533E
	v_rcp_f32_e32 v62, v62                                     // 000000003020: 7E7C453E
	s_nop 1                                                    // 000000003024: BF800001
	v_mul_f32_e32 v62, 0x42fe0000, v62                         // 000000003028: 0A7C7CFF 42FE0000
	v_mul_f32_e32 v128, v62, v240                              // 000000003030: 0B01E13E
	v_mul_f32_e32 v129, v62, v241                              // 000000003034: 0B03E33E
	v_mul_f32_e32 v130, v62, v242                              // 000000003038: 0B05E53E
	v_mul_f32_e32 v131, v62, v243                              // 00000000303C: 0B07E73E
	v_mul_f32_e32 v132, v62, v244                              // 000000003040: 0B09E93E
	v_mul_f32_e32 v133, v62, v245                              // 000000003044: 0B0BEB3E
	v_mul_f32_e32 v134, v62, v246                              // 000000003048: 0B0DED3E
	v_mul_f32_e32 v135, v62, v247                              // 00000000304C: 0B0FEF3E
	v_cvt_i32_f32_e32 v128, v128                               // 000000003050: 7F001180
	v_cvt_i32_f32_e32 v129, v129                               // 000000003054: 7F021181
	v_cvt_i32_f32_e32 v130, v130                               // 000000003058: 7F041182
	v_cvt_i32_f32_e32 v131, v131                               // 00000000305C: 7F061183
	v_cvt_i32_f32_e32 v132, v132                               // 000000003060: 7F081184
	v_cvt_i32_f32_e32 v133, v133                               // 000000003064: 7F0A1185
	v_cvt_i32_f32_e32 v134, v134                               // 000000003068: 7F0C1186
	v_cvt_i32_f32_e32 v135, v135                               // 00000000306C: 7F0E1187
	v_perm_b32 v128, v129, v128, s53                           // 000000003070: D1ED0080 00D70181
	v_perm_b32 v128, v130, v128, s54                           // 000000003078: D1ED0080 00DB0182
	v_perm_b32 v128, v131, v128, s55                           // 000000003080: D1ED0080 00DF0183
	v_perm_b32 v129, v133, v132, s53                           // 000000003088: D1ED0081 00D70985
	v_perm_b32 v129, v134, v129, s54                           // 000000003090: D1ED0081 00DB0386
	v_perm_b32 v129, v135, v129, s55                           // 000000003098: D1ED0081 00DF0387
	ds_write_b32 v13, v128 offset:25088                        // 0000000030A0: D81A6200 0000800D
	ds_write_b32 v13, v129 offset:26112                        // 0000000030A8: D81A6600 0000810D
	v_cvt_f32_i32_e32 v192, v192                               // 0000000030B0: 7F800BC0
	v_cvt_f32_i32_e32 v193, v193                               // 0000000030B4: 7F820BC1
	v_cvt_f32_i32_e32 v194, v194                               // 0000000030B8: 7F840BC2
	v_cvt_f32_i32_e32 v195, v195                               // 0000000030BC: 7F860BC3
	v_mul_f32_e32 v192, v58, v192                              // 0000000030C0: 0B81813A
	v_mul_f32_e32 v193, v58, v193                              // 0000000030C4: 0B83833A
	v_mul_f32_e32 v194, v58, v194                              // 0000000030C8: 0B85853A
	v_mul_f32_e32 v195, v58, v195                              // 0000000030CC: 0B87873A
	v_rcp_f32_e32 v58, v62                                     // 0000000030D0: 7E74453E
	s_waitcnt lgkmcnt(0)                                       // 0000000030D4: BF8CC07F
	s_barrier                                                  // 0000000030D8: BF8A0000
	ds_read_b64 v[128:129], v12 offset:25088                   // 0000000030DC: D8EC6200 8000000C
	ds_read_b64 v[130:131], v12 offset:25216                   // 0000000030E4: D8EC6280 8200000C
	ds_read_b64 v[132:133], v12 offset:26112                   // 0000000030EC: D8EC6600 8400000C
	ds_read_b64 v[134:135], v12 offset:26240                   // 0000000030F4: D8EC6680 8600000C
	v_add_f32_e32 v224, v224, v192                             // 0000000030FC: 03C181E0
	v_add_f32_e32 v225, v225, v193                             // 000000003100: 03C383E1
	v_add_f32_e32 v226, v226, v194                             // 000000003104: 03C585E2
	v_add_f32_e32 v227, v227, v195                             // 000000003108: 03C787E3
	s_waitcnt lgkmcnt(3)                                       // 00000000310C: BF8CC37F
	v_mov_b32_dpp v136, v128 row_shl:8 row_mask:0xf bank_mask:0xf bound_ctrl:1// 000000003110: 7F1002FA FF090880
	v_and_b32_e32 v128, v128, v9                               // 000000003118: 27001380
	v_mov_b32_dpp v137, v129 row_shl:8 row_mask:0xf bank_mask:0xf bound_ctrl:1// 00000000311C: 7F1202FA FF090881
	v_and_b32_e32 v129, v129, v9                               // 000000003124: 27021381
	s_waitcnt lgkmcnt(2)                                       // 000000003128: BF8CC27F
	v_mov_b32_dpp v138, v130 row_shl:8 row_mask:0xf bank_mask:0xf bound_ctrl:1// 00000000312C: 7F1402FA FF090882
	v_and_b32_e32 v130, v130, v9                               // 000000003134: 27041382
	v_mov_b32_dpp v139, v131 row_shl:8 row_mask:0xf bank_mask:0xf bound_ctrl:1// 000000003138: 7F1602FA FF090883
	v_and_b32_e32 v131, v131, v9                               // 000000003140: 27061383
	s_waitcnt lgkmcnt(1)                                       // 000000003144: BF8CC17F
	v_mov_b32_dpp v140, v132 row_shl:8 row_mask:0xf bank_mask:0xf bound_ctrl:1// 000000003148: 7F1802FA FF090884
	v_and_b32_e32 v132, v132, v9                               // 000000003150: 27081384
	v_mov_b32_dpp v141, v133 row_shl:8 row_mask:0xf bank_mask:0xf bound_ctrl:1// 000000003154: 7F1A02FA FF090885
	v_and_b32_e32 v133, v133, v9                               // 00000000315C: 270A1385
	s_waitcnt lgkmcnt(0)                                       // 000000003160: BF8CC07F
	v_mov_b32_dpp v142, v134 row_shl:8 row_mask:0xf bank_mask:0xf bound_ctrl:1// 000000003164: 7F1C02FA FF090886
	v_and_b32_e32 v134, v134, v9                               // 00000000316C: 270C1386
	v_mov_b32_dpp v143, v135 row_shl:8 row_mask:0xf bank_mask:0xf bound_ctrl:1// 000000003170: 7F1E02FA FF090887
	v_and_b32_e32 v135, v135, v9                               // 000000003178: 270E1387
	s_waitcnt vmcnt(15)                                        // 00000000317C: BF8C0F7F
	v_mfma_i32_16x16x32_i8 v[192:195], a[64:65], v[128:129], 0 // 000000003180: D3D700C0 0A030140
	v_mfma_i32_16x16x32_i8 v[192:195], a[66:67], v[130:131], v[192:195]// 000000003188: D3D700C0 0F030542
	buffer_load_dwordx4 a[112:115], v37, s[20:23], 0 offen offset:1024// 000000003190: E05C1400 80857025
	v_mfma_i32_16x16x32_i8 v[192:195], a[68:69], v[132:133], v[192:195]// 000000003198: D3D700C0 0F030944
	v_mfma_i32_16x16x32_i8 v[192:195], a[70:71], v[134:135], v[192:195]// 0000000031A0: D3D700C0 0F030D46
	v_mfma_i32_16x16x32_i8 v[192:195], a[72:73], v[136:137], v[192:195]// 0000000031A8: D3D700C0 0F031148
	v_mfma_i32_16x16x32_i8 v[192:195], a[74:75], v[138:139], v[192:195]// 0000000031B0: D3D700C0 0F03154A
	buffer_load_dwordx4 a[116:119], v38, s[20:23], 0 offen offset:1024// 0000000031B8: E05C1400 80857426
	v_mfma_i32_16x16x32_i8 v[192:195], a[76:77], v[140:141], v[192:195]// 0000000031C0: D3D700C0 0F03194C
	v_mfma_i32_16x16x32_i8 v[192:195], a[78:79], v[142:143], v[192:195]// 0000000031C8: D3D700C0 0F031D4E
	v_mfma_i32_16x16x32_i8 v[196:199], a[80:81], v[128:129], 0 // 0000000031D0: D3D700C4 0A030150
	v_mfma_i32_16x16x32_i8 v[196:199], a[82:83], v[130:131], v[196:199]// 0000000031D8: D3D700C4 0F130552
	buffer_load_dwordx4 a[120:123], v39, s[20:23], 0 offen offset:1024// 0000000031E0: E05C1400 80857827
	v_mfma_i32_16x16x32_i8 v[196:199], a[84:85], v[132:133], v[196:199]// 0000000031E8: D3D700C4 0F130954
	v_mfma_i32_16x16x32_i8 v[196:199], a[86:87], v[134:135], v[196:199]// 0000000031F0: D3D700C4 0F130D56
	v_mfma_i32_16x16x32_i8 v[196:199], a[88:89], v[136:137], v[196:199]// 0000000031F8: D3D700C4 0F131158
	v_mfma_i32_16x16x32_i8 v[196:199], a[90:91], v[138:139], v[196:199]// 000000003200: D3D700C4 0F13155A
	buffer_load_dwordx4 a[124:127], v40, s[20:23], 0 offen offset:1024// 000000003208: E05C1400 80857C28
	v_mfma_i32_16x16x32_i8 v[196:199], a[92:93], v[140:141], v[196:199]// 000000003210: D3D700C4 0F13195C
	s_lshr_b32 s57, s70, 4                                     // 000000003218: 8F398446
	s_add_u32 s57, 48, s57                                     // 00000000321C: 803939B0
	v_mfma_i32_16x16x32_i8 v[196:199], a[94:95], v[142:143], v[196:199]// 000000003220: D3D700C4 0F131D5E
	s_cmp_ge_u32 s57, s73                                      // 000000003228: BF094939
	s_cselect_b32 s56, 0, s56                                  // 00000000322C: 85383880
	v_add_u32_e32 v1, s56, v1                                  // 000000003230: 68020238
	s_addk_i32 s70, 0x100                                      // 000000003234: B7460100
	s_cmp_lt_i32 s70, s71                                      // 000000003238: BF044746
	s_cbranch_scc0 label_0603                                  // 00000000323C: BF8401F3
	s_waitcnt vmcnt(8) lgkmcnt(0)                              // 000000003240: BF8C0078
	v_mul_u32_u24_dpp v41, v19, v68 row_newbcast:0 row_mask:0xf bank_mask:0xf// 000000003244: 105288FA FF015013
	v_mul_u32_u24_dpp v42, v19, v68 row_newbcast:4 row_mask:0xf bank_mask:0xf// 00000000324C: 105488FA FF015413
	v_mul_u32_u24_dpp v43, v19, v68 row_newbcast:8 row_mask:0xf bank_mask:0xf// 000000003254: 105688FA FF015813
	v_mul_u32_u24_dpp v44, v19, v68 row_newbcast:12 row_mask:0xf bank_mask:0xf// 00000000325C: 105888FA FF015C13
	v_add_u32_e32 v25, v41, v6                                 // 000000003264: 68320D29
	v_add_u32_e32 v26, v42, v6                                 // 000000003268: 68340D2A
	v_add_u32_e32 v27, v43, v6                                 // 00000000326C: 68360D2B
	v_add_u32_e32 v28, v44, v6                                 // 000000003270: 68380D2C
	v_mul_u32_u24_dpp v41, v19, v78 quad_perm:[0,0,0,0] row_mask:0xf bank_mask:0xf// 000000003274: 10529CFA FF000013
	v_add_u32_e32 v2, v41, v74                                 // 00000000327C: 68049529
	v_mul_u32_u24_dpp v41, v19, v78 quad_perm:[0,0,0,0] row_mask:0xf bank_mask:0xf// 000000003280: 10529CFA FF000013
	v_add_u32_e32 v70, v41, v75                                // 000000003288: 688C9729
	v_mfma_i32_16x16x32_i8 v[128:131], a[32:33], v[96:97], 0   // 00000000328C: D3D70080 0A02C120
	v_mfma_i32_16x16x32_i8 v[128:131], a[34:35], v[98:99], v[128:131]// 000000003294: D3D70080 0E02C522
	buffer_load_dwordx4 a[0:3], v25, s[16:19], 0 offen         // 00000000329C: E05C1000 80840019
	v_mfma_i32_16x16x32_i8 v[128:131], a[36:37], v[100:101], v[128:131]// 0000000032A4: D3D70080 0E02C924
	v_mfma_i32_16x16x32_i8 v[128:131], a[38:39], v[102:103], v[128:131]// 0000000032AC: D3D70080 0E02CD26
	buffer_load_dword v20, v1, s[24:27], 0 offen               // 0000000032B4: E0501000 80061401
	v_mfma_i32_16x16x32_i8 v[132:135], a[40:41], v[96:97], 0   // 0000000032BC: D3D70084 0A02C128
	v_mfma_i32_16x16x32_i8 v[132:135], a[42:43], v[98:99], v[132:135]// 0000000032C4: D3D70084 0E12C52A
	buffer_load_dwordx4 a[4:7], v25, s[16:19], 0 offen offset:1024// 0000000032CC: E05C1400 80840419
	v_mfma_i32_16x16x32_i8 v[132:135], a[44:45], v[100:101], v[132:135]// 0000000032D4: D3D70084 0E12C92C
	v_mfma_i32_16x16x32_i8 v[132:135], a[46:47], v[102:103], v[132:135]// 0000000032DC: D3D70084 0E12CD2E
	v_mfma_i32_16x16x32_i8 v[136:139], a[48:49], v[96:97], 0   // 0000000032E4: D3D70088 0A02C130
	v_mfma_i32_16x16x32_i8 v[136:139], a[50:51], v[98:99], v[136:139]// 0000000032EC: D3D70088 0E22C532
	buffer_load_dwordx4 a[8:11], v26, s[16:19], 0 offen        // 0000000032F4: E05C1000 8084081A
	v_mfma_i32_16x16x32_i8 v[136:139], a[52:53], v[100:101], v[136:139]// 0000000032FC: D3D70088 0E22C934
	v_mfma_i32_16x16x32_i8 v[136:139], a[54:55], v[102:103], v[136:139]// 000000003304: D3D70088 0E22CD36
	v_mfma_i32_16x16x32_i8 v[140:143], a[56:57], v[96:97], 0   // 00000000330C: D3D7008C 0A02C138
	v_mfma_i32_16x16x32_i8 v[140:143], a[58:59], v[98:99], v[140:143]// 000000003314: D3D7008C 0E32C53A
	buffer_load_dwordx4 a[12:15], v26, s[16:19], 0 offen offset:1024// 00000000331C: E05C1400 80840C1A
	v_mfma_i32_16x16x32_i8 v[140:143], a[60:61], v[100:101], v[140:143]// 000000003324: D3D7008C 0E32C93C
	v_mfma_i32_16x16x32_i8 v[140:143], a[62:63], v[102:103], v[140:143]// 00000000332C: D3D7008C 0E32CD3E
	buffer_load_dword v52, v2, s[32:35], 0 offen               // 000000003334: E0501000 80083402
	v_mov_b32_dpp v41, v53 row_shr:4 row_mask:0xf bank_mask:0xf// 00000000333C: 7E5202FA FF011435
	v_mov_b32_dpp v42, v53 row_shl:4 row_mask:0xf bank_mask:0xf// 000000003344: 7E5402FA FF010435
	v_cndmask_b32_e64 v248, v53, v41, s[44:45]                 // 00000000334C: D10000F8 00B25335
	v_cndmask_b32_e64 v249, v42, v53, s[44:45]                 // 000000003354: D10000F9 00B26B2A
	v_mov_b32_dpp v41, v73 row_shr:4 row_mask:0xf bank_mask:0xf// 00000000335C: 7E5202FA FF011449
	v_mov_b32_dpp v42, v73 row_shl:4 row_mask:0xf bank_mask:0xf// 000000003364: 7E5402FA FF010449
	v_cndmask_b32_e64 v252, v73, v41, s[44:45]                 // 00000000336C: D10000FC 00B25349
	v_cndmask_b32_e64 v253, v42, v73, s[44:45]                 // 000000003374: D10000FD 00B2932A
	v_or_b32_dpp v128, v136, v128 row_shr:8 row_mask:0xf bank_mask:0xf bound_ctrl:1// 00000000337C: 290100FA FF091888
	v_or_b32_dpp v129, v137, v129 row_shr:8 row_mask:0xf bank_mask:0xf bound_ctrl:1// 000000003384: 290302FA FF091889
	v_or_b32_dpp v130, v138, v130 row_shr:8 row_mask:0xf bank_mask:0xf bound_ctrl:1// 00000000338C: 290504FA FF09188A
	v_or_b32_dpp v131, v139, v131 row_shr:8 row_mask:0xf bank_mask:0xf bound_ctrl:1// 000000003394: 290706FA FF09188B
	v_or_b32_dpp v132, v140, v132 row_shr:8 row_mask:0xf bank_mask:0xf bound_ctrl:1// 00000000339C: 290908FA FF09188C
	v_or_b32_dpp v133, v141, v133 row_shr:8 row_mask:0xf bank_mask:0xf bound_ctrl:1// 0000000033A4: 290B0AFA FF09188D
	v_or_b32_dpp v134, v142, v134 row_shr:8 row_mask:0xf bank_mask:0xf bound_ctrl:1// 0000000033AC: 290D0CFA FF09188E
	v_or_b32_dpp v135, v143, v135 row_shr:8 row_mask:0xf bank_mask:0xf bound_ctrl:1// 0000000033B4: 290F0EFA FF09188F
	buffer_load_dword v72, v70, s[36:39], 0 offen              // 0000000033BC: E0501000 80094846
	v_cvt_f32_i32_e32 v128, v128                               // 0000000033C4: 7F000B80
	v_cvt_f32_i32_e32 v129, v129                               // 0000000033C8: 7F020B81
	v_cvt_f32_i32_e32 v130, v130                               // 0000000033CC: 7F040B82
	v_cvt_f32_i32_e32 v131, v131                               // 0000000033D0: 7F060B83
	v_cvt_f32_i32_e32 v132, v132                               // 0000000033D4: 7F080B84
	v_cvt_f32_i32_e32 v133, v133                               // 0000000033D8: 7F0A0B85
	v_cvt_f32_i32_e32 v134, v134                               // 0000000033DC: 7F0C0B86
	v_cvt_f32_i32_e32 v135, v135                               // 0000000033E0: 7F0E0B87
	v_mul_f32_e32 v128, v54, v128                              // 0000000033E4: 0B010136
	v_mul_f32_e32 v129, v54, v129                              // 0000000033E8: 0B030336
	v_mul_f32_e32 v130, v54, v130                              // 0000000033EC: 0B050536
	v_mul_f32_e32 v131, v54, v131                              // 0000000033F0: 0B070736
	v_mul_f32_e32 v132, v54, v132                              // 0000000033F4: 0B090936
	v_mul_f32_e32 v133, v54, v133                              // 0000000033F8: 0B0B0B36
	v_mul_f32_e32 v134, v54, v134                              // 0000000033FC: 0B0D0D36
	v_mul_f32_e32 v135, v54, v135                              // 000000003400: 0B0F0F36
	buffer_load_dwordx4 a[16:19], v27, s[16:19], 0 offen       // 000000003404: E05C1000 8084101B
	v_mul_f32_dpp v128, v248, v128 quad_perm:[0,0,0,0] row_mask:0xf bank_mask:0xf// 00000000340C: 0B0100FA FF0000F8
	v_mul_f32_dpp v129, v248, v129 quad_perm:[1,1,1,1] row_mask:0xf bank_mask:0xf// 000000003414: 0B0302FA FF0055F8
	v_mul_f32_dpp v130, v248, v130 quad_perm:[2,2,2,2] row_mask:0xf bank_mask:0xf// 00000000341C: 0B0504FA FF00AAF8
	v_mul_f32_dpp v131, v248, v131 quad_perm:[3,3,3,3] row_mask:0xf bank_mask:0xf// 000000003424: 0B0706FA FF00FFF8
	v_mul_f32_dpp v132, v249, v132 quad_perm:[0,0,0,0] row_mask:0xf bank_mask:0xf// 00000000342C: 0B0908FA FF0000F9
	v_mul_f32_dpp v133, v249, v133 quad_perm:[1,1,1,1] row_mask:0xf bank_mask:0xf// 000000003434: 0B0B0AFA FF0055F9
	v_mul_f32_dpp v134, v249, v134 quad_perm:[2,2,2,2] row_mask:0xf bank_mask:0xf// 00000000343C: 0B0D0CFA FF00AAF9
	v_mul_f32_dpp v135, v249, v135 quad_perm:[3,3,3,3] row_mask:0xf bank_mask:0xf// 000000003444: 0B0F0EFA FF00FFF9
	buffer_load_dwordx4 a[20:23], v27, s[16:19], 0 offen offset:1024// 00000000344C: E05C1400 8084141B
	v_mov_b32_e32 v62, v128                                    // 000000003454: 7E7C0380
	v_max3_f32 v62, v128, v129, v62                            // 000000003458: D1D3003E 04FB0380
	v_max3_f32 v62, v130, v131, v62                            // 000000003460: D1D3003E 04FB0782
	v_max3_f32 v62, v132, v133, v62                            // 000000003468: D1D3003E 04FB0B84
	v_max3_f32 v62, v134, v135, v62                            // 000000003470: D1D3003E 04FB0F86
	ds_write_b32 v11, v62 offset:16896                         // 000000003478: D81A4200 00003E0B
	buffer_load_dwordx4 a[24:27], v28, s[16:19], 0 offen       // 000000003480: E05C1000 8084181C
	v_mul_u32_u24_dpp v41, v19, v68 row_newbcast:1 row_mask:0xf bank_mask:0xf// 000000003488: 105288FA FF015113
	v_mul_u32_u24_dpp v42, v19, v68 row_newbcast:5 row_mask:0xf bank_mask:0xf// 000000003490: 105488FA FF015513
	v_mul_u32_u24_dpp v43, v19, v68 row_newbcast:9 row_mask:0xf bank_mask:0xf// 000000003498: 105688FA FF015913
	v_mul_u32_u24_dpp v44, v19, v68 row_newbcast:13 row_mask:0xf bank_mask:0xf// 0000000034A0: 105888FA FF015D13
	v_add_u32_e32 v33, v41, v7                                 // 0000000034A8: 68420F29
	v_add_u32_e32 v34, v42, v7                                 // 0000000034AC: 68440F2A
	v_add_u32_e32 v35, v43, v7                                 // 0000000034B0: 68460F2B
	v_add_u32_e32 v36, v44, v7                                 // 0000000034B4: 68480F2C
	s_waitcnt lgkmcnt(0)                                       // 0000000034B8: BF8CC07F
	s_barrier                                                  // 0000000034BC: BF8A0000
	ds_read_b32 v80, v10 offset:16896                          // 0000000034C0: D86C4200 5000000A
	ds_read_b32 v81, v10 offset:16960                          // 0000000034C8: D86C4240 5100000A
	ds_read_b32 v82, v10 offset:17024                          // 0000000034D0: D86C4280 5200000A
	ds_read_b32 v83, v10 offset:17088                          // 0000000034D8: D86C42C0 5300000A
	ds_read_b32 v84, v10 offset:17152                          // 0000000034E0: D86C4300 5400000A
	ds_read_b32 v85, v10 offset:17216                          // 0000000034E8: D86C4340 5500000A
	ds_read_b32 v86, v10 offset:17280                          // 0000000034F0: D86C4380 5600000A
	ds_read_b32 v87, v10 offset:17344                          // 0000000034F8: D86C43C0 5700000A
	ds_read_b32 v88, v10 offset:17408                          // 000000003500: D86C4400 5800000A
	ds_read_b32 v89, v10 offset:17472                          // 000000003508: D86C4440 5900000A
	ds_read_b32 v90, v10 offset:17536                          // 000000003510: D86C4480 5A00000A
	ds_read_b32 v91, v10 offset:17600                          // 000000003518: D86C44C0 5B00000A
	ds_read_b32 v92, v10 offset:17664                          // 000000003520: D86C4500 5C00000A
	ds_read_b32 v93, v10 offset:17728                          // 000000003528: D86C4540 5D00000A
	ds_read_b32 v94, v10 offset:17792                          // 000000003530: D86C4580 5E00000A
	ds_read_b32 v95, v10 offset:17856                          // 000000003538: D86C45C0 5F00000A
	buffer_load_dwordx4 a[28:31], v28, s[16:19], 0 offen offset:1024// 000000003540: E05C1400 80841C1C
	v_mul_f32_e32 v224, v63, v224                              // 000000003548: 0BC1C13F
	v_mul_f32_e32 v225, v63, v225                              // 00000000354C: 0BC3C33F
	v_mul_f32_e32 v226, v63, v226                              // 000000003550: 0BC5C53F
	v_mul_f32_e32 v227, v63, v227                              // 000000003554: 0BC7C73F
	v_or_b32_dpp v192, v196, v192 row_shr:8 row_mask:0xf bank_mask:0xf bound_ctrl:1// 000000003558: 298180FA FF0918C4
	v_or_b32_dpp v193, v197, v193 row_shr:8 row_mask:0xf bank_mask:0xf bound_ctrl:1// 000000003560: 298382FA FF0918C5
	v_or_b32_dpp v194, v198, v194 row_shr:8 row_mask:0xf bank_mask:0xf bound_ctrl:1// 000000003568: 298584FA FF0918C6
	v_or_b32_dpp v195, v199, v195 row_shr:8 row_mask:0xf bank_mask:0xf bound_ctrl:1// 000000003570: 298786FA FF0918C7
	s_waitcnt lgkmcnt(0)                                       // 000000003578: BF8CC07F
	v_max3_f32 v62, v80, v81, v62                              // 00000000357C: D1D3003E 04FAA350
	v_max3_f32 v62, v82, v83, v62                              // 000000003584: D1D3003E 04FAA752
	v_max3_f32 v62, v84, v85, v62                              // 00000000358C: D1D3003E 04FAAB54
	v_max3_f32 v62, v86, v87, v62                              // 000000003594: D1D3003E 04FAAF56
	v_max3_f32 v62, v88, v89, v62                              // 00000000359C: D1D3003E 04FAB358
	v_max3_f32 v62, v90, v91, v62                              // 0000000035A4: D1D3003E 04FAB75A
	v_max3_f32 v62, v92, v93, v62                              // 0000000035AC: D1D3003E 04FABB5C
	v_max3_f32 v62, v94, v95, v62                              // 0000000035B4: D1D3003E 04FABF5E
	buffer_load_dwordx4 a[64:67], v33, s[20:23], 0 offen       // 0000000035BC: E05C1000 80854021
	v_cmp_eq_u32_e64 s[40:41], v69, v14                        // 0000000035C4: D0CA0028 00021D45
	s_nop 1                                                    // 0000000035CC: BF800001
	v_mov_b32_dpp v41, v62 row_ror:8 row_mask:0xf bank_mask:0xf// 0000000035D0: 7E5202FA FF01283E
	v_max_f32_e32 v62, v62, v41                                // 0000000035D8: 167C533E
	v_max_f32_e32 v18, v62, v14                                // 0000000035DC: 16241D3E
	v_mul_f32_e32 v67, s64, v18                                // 0000000035E0: 0A862440
	v_fma_f32 v128, v128, s64, -v67                            // 0000000035E4: D1CB0080 850C8180
	v_fma_f32 v129, v129, s64, -v67                            // 0000000035EC: D1CB0081 850C8181
	v_fma_f32 v130, v130, s64, -v67                            // 0000000035F4: D1CB0082 850C8182
	v_fma_f32 v131, v131, s64, -v67                            // 0000000035FC: D1CB0083 850C8183
	v_fma_f32 v132, v132, s64, -v67                            // 000000003604: D1CB0084 850C8184
	v_fma_f32 v133, v133, s64, -v67                            // 00000000360C: D1CB0085 850C8185
	v_fma_f32 v134, v134, s64, -v67                            // 000000003614: D1CB0086 850C8186
	v_fma_f32 v135, v135, s64, -v67                            // 00000000361C: D1CB0087 850C8187
	buffer_load_dwordx4 a[68:71], v34, s[20:23], 0 offen       // 000000003624: E05C1000 80854422
	v_exp_f32_e32 v128, v128                                   // 00000000362C: 7F004180
	v_exp_f32_e32 v129, v129                                   // 000000003630: 7F024181
	v_exp_f32_e32 v130, v130                                   // 000000003634: 7F044182
	v_exp_f32_e32 v131, v131                                   // 000000003638: 7F064183
	v_exp_f32_e32 v132, v132                                   // 00000000363C: 7F084184
	v_exp_f32_e32 v133, v133                                   // 000000003640: 7F0A4185
	v_exp_f32_e32 v134, v134                                   // 000000003644: 7F0C4186
	v_exp_f32_e32 v135, v135                                   // 000000003648: 7F0E4187
	buffer_load_dwordx4 a[72:75], v35, s[20:23], 0 offen       // 00000000364C: E05C1000 80854823
	v_mul_f32_dpp v240, v252, v128 quad_perm:[0,0,0,0] row_mask:0xf bank_mask:0xf// 000000003654: 0BE100FA FF0000FC
	v_mul_f32_dpp v241, v252, v129 quad_perm:[1,1,1,1] row_mask:0xf bank_mask:0xf// 00000000365C: 0BE302FA FF0055FC
	v_mul_f32_dpp v242, v252, v130 quad_perm:[2,2,2,2] row_mask:0xf bank_mask:0xf// 000000003664: 0BE504FA FF00AAFC
	v_mul_f32_dpp v243, v252, v131 quad_perm:[3,3,3,3] row_mask:0xf bank_mask:0xf// 00000000366C: 0BE706FA FF00FFFC
	v_mul_f32_dpp v244, v253, v132 quad_perm:[0,0,0,0] row_mask:0xf bank_mask:0xf// 000000003674: 0BE908FA FF0000FD
	v_mul_f32_dpp v245, v253, v133 quad_perm:[1,1,1,1] row_mask:0xf bank_mask:0xf// 00000000367C: 0BEB0AFA FF0055FD
	v_mul_f32_dpp v246, v253, v134 quad_perm:[2,2,2,2] row_mask:0xf bank_mask:0xf// 000000003684: 0BED0CFA FF00AAFD
	v_mul_f32_dpp v247, v253, v135 quad_perm:[3,3,3,3] row_mask:0xf bank_mask:0xf// 00000000368C: 0BEF0EFA FF00FFFD
	v_mov_b32_e32 v62, 0x358637bd                              // 000000003694: 7E7C02FF 358637BD
	v_max3_f32 v62, |v240|, |v241|, v62                        // 00000000369C: D1D3033E 04FBE3F0
	v_max3_f32 v62, |v242|, |v243|, v62                        // 0000000036A4: D1D3033E 04FBE7F2
	v_max3_f32 v62, |v244|, |v245|, v62                        // 0000000036AC: D1D3033E 04FBEBF4
	v_max3_f32 v62, |v246|, |v247|, v62                        // 0000000036B4: D1D3033E 04FBEFF6
	buffer_load_dwordx4 a[76:79], v36, s[20:23], 0 offen       // 0000000036BC: E05C1000 80854C24
	ds_write_b32 v11, v62 offset:20992                         // 0000000036C4: D81A5200 00003E0B
	v_sub_f32_e32 v63, v14, v18                                // 0000000036CC: 047E250E
	v_cndmask_b32_e64 v63, v63, 0, s[40:41]                    // 0000000036D0: D100003F 00A1013F
	v_mov_b32_e32 v14, v18                                     // 0000000036D8: 7E1C0312
	v_mul_f32_e32 v63, s64, v63                                // 0000000036DC: 0A7E7E40
	v_exp_f32_e32 v63, v63                                     // 0000000036E0: 7E7E413F
	s_waitcnt lgkmcnt(0)                                       // 0000000036E4: BF8CC07F
	s_barrier                                                  // 0000000036E8: BF8A0000
	ds_read_b32 v80, v10 offset:20992                          // 0000000036EC: D86C5200 5000000A
	ds_read_b32 v81, v10 offset:21056                          // 0000000036F4: D86C5240 5100000A
	ds_read_b32 v82, v10 offset:21120                          // 0000000036FC: D86C5280 5200000A
	ds_read_b32 v83, v10 offset:21184                          // 000000003704: D86C52C0 5300000A
	ds_read_b32 v84, v10 offset:21248                          // 00000000370C: D86C5300 5400000A
	ds_read_b32 v85, v10 offset:21312                          // 000000003714: D86C5340 5500000A
	ds_read_b32 v86, v10 offset:21376                          // 00000000371C: D86C5380 5600000A
	ds_read_b32 v87, v10 offset:21440                          // 000000003724: D86C53C0 5700000A
	ds_read_b32 v88, v10 offset:21504                          // 00000000372C: D86C5400 5800000A
	ds_read_b32 v89, v10 offset:21568                          // 000000003734: D86C5440 5900000A
	ds_read_b32 v90, v10 offset:21632                          // 00000000373C: D86C5480 5A00000A
	ds_read_b32 v91, v10 offset:21696                          // 000000003744: D86C54C0 5B00000A
	ds_read_b32 v92, v10 offset:21760                          // 00000000374C: D86C5500 5C00000A
	ds_read_b32 v93, v10 offset:21824                          // 000000003754: D86C5540 5D00000A
	ds_read_b32 v94, v10 offset:21888                          // 00000000375C: D86C5580 5E00000A
	ds_read_b32 v95, v10 offset:21952                          // 000000003764: D86C55C0 5F00000A
	v_mul_f32_e32 v47, v63, v47                                // 00000000376C: 0A5E5F3F
	v_mov_b32_e32 v51, v128                                    // 000000003770: 7E660380
	v_add_f32_e32 v51, v129, v51                               // 000000003774: 02666781
	v_add_f32_e32 v51, v130, v51                               // 000000003778: 02666782
	v_add_f32_e32 v51, v131, v51                               // 00000000377C: 02666783
	v_add_f32_e32 v51, v132, v51                               // 000000003780: 02666784
	v_add_f32_e32 v51, v133, v51                               // 000000003784: 02666785
	;; [unrolled: 1-line block ×3, first 2 shown]
	v_add_f32_e32 v51, v135, v51                               // 00000000378C: 02666787
	v_add_f32_e32 v47, v51, v47                                // 000000003790: 025E5F33
	s_waitcnt lgkmcnt(0)                                       // 000000003794: BF8CC07F
	v_max3_f32 v62, |v80|, |v81|, v62                          // 000000003798: D1D3033E 04FAA350
	v_max3_f32 v62, |v82|, |v83|, v62                          // 0000000037A0: D1D3033E 04FAA752
	v_max3_f32 v62, |v84|, |v85|, v62                          // 0000000037A8: D1D3033E 04FAAB54
	v_max3_f32 v62, |v86|, |v87|, v62                          // 0000000037B0: D1D3033E 04FAAF56
	v_max3_f32 v62, |v88|, |v89|, v62                          // 0000000037B8: D1D3033E 04FAB358
	v_max3_f32 v62, |v90|, |v91|, v62                          // 0000000037C0: D1D3033E 04FAB75A
	v_max3_f32 v62, |v92|, |v93|, v62                          // 0000000037C8: D1D3033E 04FABB5C
	v_max3_f32 v62, |v94|, |v95|, v62                          // 0000000037D0: D1D3033E 04FABF5E
	s_nop 2                                                    // 0000000037D8: BF800002
	v_mov_b32_dpp v41, v62 row_ror:8 row_mask:0xf bank_mask:0xf// 0000000037DC: 7E5202FA FF01283E
	v_max_f32_e32 v62, v62, v41                                // 0000000037E4: 167C533E
	v_rcp_f32_e32 v62, v62                                     // 0000000037E8: 7E7C453E
	s_nop 1                                                    // 0000000037EC: BF800001
	v_mul_f32_e32 v62, 0x42fe0000, v62                         // 0000000037F0: 0A7C7CFF 42FE0000
	v_mul_f32_e32 v128, v62, v240                              // 0000000037F8: 0B01E13E
	v_mul_f32_e32 v129, v62, v241                              // 0000000037FC: 0B03E33E
	v_mul_f32_e32 v130, v62, v242                              // 000000003800: 0B05E53E
	v_mul_f32_e32 v131, v62, v243                              // 000000003804: 0B07E73E
	v_mul_f32_e32 v132, v62, v244                              // 000000003808: 0B09E93E
	v_mul_f32_e32 v133, v62, v245                              // 00000000380C: 0B0BEB3E
	v_mul_f32_e32 v134, v62, v246                              // 000000003810: 0B0DED3E
	v_mul_f32_e32 v135, v62, v247                              // 000000003814: 0B0FEF3E
	v_cvt_i32_f32_e32 v128, v128                               // 000000003818: 7F001180
	v_cvt_i32_f32_e32 v129, v129                               // 00000000381C: 7F021181
	v_cvt_i32_f32_e32 v130, v130                               // 000000003820: 7F041182
	v_cvt_i32_f32_e32 v131, v131                               // 000000003824: 7F061183
	v_cvt_i32_f32_e32 v132, v132                               // 000000003828: 7F081184
	v_cvt_i32_f32_e32 v133, v133                               // 00000000382C: 7F0A1185
	v_cvt_i32_f32_e32 v134, v134                               // 000000003830: 7F0C1186
	v_cvt_i32_f32_e32 v135, v135                               // 000000003834: 7F0E1187
	v_perm_b32 v128, v129, v128, s53                           // 000000003838: D1ED0080 00D70181
	v_perm_b32 v128, v130, v128, s54                           // 000000003840: D1ED0080 00DB0182
	v_perm_b32 v128, v131, v128, s55                           // 000000003848: D1ED0080 00DF0183
	v_perm_b32 v129, v133, v132, s53                           // 000000003850: D1ED0081 00D70985
	v_perm_b32 v129, v134, v129, s54                           // 000000003858: D1ED0081 00DB0386
	v_perm_b32 v129, v135, v129, s55                           // 000000003860: D1ED0081 00DF0387
	ds_write_b32 v13, v128 offset:25088                        // 000000003868: D81A6200 0000800D
	ds_write_b32 v13, v129 offset:26112                        // 000000003870: D81A6600 0000810D
	v_cvt_f32_i32_e32 v192, v192                               // 000000003878: 7F800BC0
	v_cvt_f32_i32_e32 v193, v193                               // 00000000387C: 7F820BC1
	v_cvt_f32_i32_e32 v194, v194                               // 000000003880: 7F840BC2
	v_cvt_f32_i32_e32 v195, v195                               // 000000003884: 7F860BC3
	v_mul_f32_e32 v192, v58, v192                              // 000000003888: 0B81813A
	v_mul_f32_e32 v193, v58, v193                              // 00000000388C: 0B83833A
	v_mul_f32_e32 v194, v58, v194                              // 000000003890: 0B85853A
	v_mul_f32_e32 v195, v58, v195                              // 000000003894: 0B87873A
	v_rcp_f32_e32 v58, v62                                     // 000000003898: 7E74453E
	s_waitcnt lgkmcnt(0)                                       // 00000000389C: BF8CC07F
	s_barrier                                                  // 0000000038A0: BF8A0000
	ds_read_b64 v[128:129], v12 offset:25088                   // 0000000038A4: D8EC6200 8000000C
	ds_read_b64 v[130:131], v12 offset:25216                   // 0000000038AC: D8EC6280 8200000C
	ds_read_b64 v[132:133], v12 offset:26112                   // 0000000038B4: D8EC6600 8400000C
	ds_read_b64 v[134:135], v12 offset:26240                   // 0000000038BC: D8EC6680 8600000C
	v_add_f32_e32 v224, v224, v192                             // 0000000038C4: 03C181E0
	v_add_f32_e32 v225, v225, v193                             // 0000000038C8: 03C383E1
	v_add_f32_e32 v226, v226, v194                             // 0000000038CC: 03C585E2
	v_add_f32_e32 v227, v227, v195                             // 0000000038D0: 03C787E3
	s_waitcnt lgkmcnt(3)                                       // 0000000038D4: BF8CC37F
	v_mov_b32_dpp v136, v128 row_shl:8 row_mask:0xf bank_mask:0xf bound_ctrl:1// 0000000038D8: 7F1002FA FF090880
	v_and_b32_e32 v128, v128, v9                               // 0000000038E0: 27001380
	v_mov_b32_dpp v137, v129 row_shl:8 row_mask:0xf bank_mask:0xf bound_ctrl:1// 0000000038E4: 7F1202FA FF090881
	v_and_b32_e32 v129, v129, v9                               // 0000000038EC: 27021381
	s_waitcnt lgkmcnt(2)                                       // 0000000038F0: BF8CC27F
	v_mov_b32_dpp v138, v130 row_shl:8 row_mask:0xf bank_mask:0xf bound_ctrl:1// 0000000038F4: 7F1402FA FF090882
	v_and_b32_e32 v130, v130, v9                               // 0000000038FC: 27041382
	v_mov_b32_dpp v139, v131 row_shl:8 row_mask:0xf bank_mask:0xf bound_ctrl:1// 000000003900: 7F1602FA FF090883
	v_and_b32_e32 v131, v131, v9                               // 000000003908: 27061383
	s_waitcnt lgkmcnt(1)                                       // 00000000390C: BF8CC17F
	v_mov_b32_dpp v140, v132 row_shl:8 row_mask:0xf bank_mask:0xf bound_ctrl:1// 000000003910: 7F1802FA FF090884
	v_and_b32_e32 v132, v132, v9                               // 000000003918: 27081384
	v_mov_b32_dpp v141, v133 row_shl:8 row_mask:0xf bank_mask:0xf bound_ctrl:1// 00000000391C: 7F1A02FA FF090885
	v_and_b32_e32 v133, v133, v9                               // 000000003924: 270A1385
	s_waitcnt lgkmcnt(0)                                       // 000000003928: BF8CC07F
	v_mov_b32_dpp v142, v134 row_shl:8 row_mask:0xf bank_mask:0xf bound_ctrl:1// 00000000392C: 7F1C02FA FF090886
	v_and_b32_e32 v134, v134, v9                               // 000000003934: 270C1386
	v_mov_b32_dpp v143, v135 row_shl:8 row_mask:0xf bank_mask:0xf bound_ctrl:1// 000000003938: 7F1E02FA FF090887
	v_and_b32_e32 v135, v135, v9                               // 000000003940: 270E1387
	s_waitcnt vmcnt(15)                                        // 000000003944: BF8C0F7F
	v_mfma_i32_16x16x32_i8 v[192:195], a[96:97], v[128:129], 0 // 000000003948: D3D700C0 0A030160
	v_mfma_i32_16x16x32_i8 v[192:195], a[98:99], v[130:131], v[192:195]// 000000003950: D3D700C0 0F030562
	buffer_load_dwordx4 a[80:83], v33, s[20:23], 0 offen offset:1024// 000000003958: E05C1400 80855021
	v_mfma_i32_16x16x32_i8 v[192:195], a[100:101], v[132:133], v[192:195]// 000000003960: D3D700C0 0F030964
	v_mfma_i32_16x16x32_i8 v[192:195], a[102:103], v[134:135], v[192:195]// 000000003968: D3D700C0 0F030D66
	v_mfma_i32_16x16x32_i8 v[192:195], a[104:105], v[136:137], v[192:195]// 000000003970: D3D700C0 0F031168
	v_mfma_i32_16x16x32_i8 v[192:195], a[106:107], v[138:139], v[192:195]// 000000003978: D3D700C0 0F03156A
	buffer_load_dwordx4 a[84:87], v34, s[20:23], 0 offen offset:1024// 000000003980: E05C1400 80855422
	v_mfma_i32_16x16x32_i8 v[192:195], a[108:109], v[140:141], v[192:195]// 000000003988: D3D700C0 0F03196C
	v_mfma_i32_16x16x32_i8 v[192:195], a[110:111], v[142:143], v[192:195]// 000000003990: D3D700C0 0F031D6E
	v_mfma_i32_16x16x32_i8 v[196:199], a[112:113], v[128:129], 0// 000000003998: D3D700C4 0A030170
	v_mfma_i32_16x16x32_i8 v[196:199], a[114:115], v[130:131], v[196:199]// 0000000039A0: D3D700C4 0F130572
	buffer_load_dwordx4 a[88:91], v35, s[20:23], 0 offen offset:1024// 0000000039A8: E05C1400 80855823
	v_mfma_i32_16x16x32_i8 v[196:199], a[116:117], v[132:133], v[196:199]// 0000000039B0: D3D700C4 0F130974
	v_mfma_i32_16x16x32_i8 v[196:199], a[118:119], v[134:135], v[196:199]// 0000000039B8: D3D700C4 0F130D76
	v_mfma_i32_16x16x32_i8 v[196:199], a[120:121], v[136:137], v[196:199]// 0000000039C0: D3D700C4 0F131178
	v_mfma_i32_16x16x32_i8 v[196:199], a[122:123], v[138:139], v[196:199]// 0000000039C8: D3D700C4 0F13157A
	buffer_load_dwordx4 a[92:95], v36, s[20:23], 0 offen offset:1024// 0000000039D0: E05C1400 80855C24
	v_mfma_i32_16x16x32_i8 v[196:199], a[124:125], v[140:141], v[196:199]// 0000000039D8: D3D700C4 0F13197C
	s_lshr_b32 s57, s70, 4                                     // 0000000039E0: 8F398446
	s_add_u32 s57, 48, s57                                     // 0000000039E4: 803939B0
	v_mfma_i32_16x16x32_i8 v[196:199], a[126:127], v[142:143], v[196:199]// 0000000039E8: D3D700C4 0F131D7E
	s_cmp_ge_u32 s57, s73                                      // 0000000039F0: BF094939
	s_cselect_b32 s56, 0, s56                                  // 0000000039F4: 85383880
	v_add_u32_e32 v1, s56, v1                                  // 0000000039F8: 68020238
	s_addk_i32 s70, 0x100                                      // 0000000039FC: B7460100
	s_cmp_lt_i32 s70, s71                                      // 000000003A00: BF044746
	s_cbranch_scc0 label_0603                                  // 000000003A04: BF840001
	s_branch label_021E                                        // 000000003A08: BF82FC1B

0000000000003a0c <label_0603>:
	s_nop 0                                                    // 000000003A0C: BF800000
	s_nop 0                                                    // 000000003A10: BF800000
	s_branch label_09EB                                        // 000000003A14: BF8203E5

0000000000003a18 <label_0606>:
	s_waitcnt vmcnt(8) lgkmcnt(0)                              // 000000003A18: BF8C0078
	v_mul_u32_u24_dpp v41, v20, v68 row_newbcast:0 row_mask:0xf bank_mask:0xf// 000000003A1C: 105288FA FF015014
	v_mul_u32_u24_dpp v42, v20, v68 row_newbcast:4 row_mask:0xf bank_mask:0xf// 000000003A24: 105488FA FF015414
	v_mul_u32_u24_dpp v43, v20, v68 row_newbcast:8 row_mask:0xf bank_mask:0xf// 000000003A2C: 105688FA FF015814
	v_mul_u32_u24_dpp v44, v20, v68 row_newbcast:12 row_mask:0xf bank_mask:0xf// 000000003A34: 105888FA FF015C14
	v_add_u32_e32 v29, v41, v6                                 // 000000003A3C: 683A0D29
	v_add_u32_e32 v30, v42, v6                                 // 000000003A40: 683C0D2A
	v_add_u32_e32 v31, v43, v6                                 // 000000003A44: 683E0D2B
	v_add_u32_e32 v32, v44, v6                                 // 000000003A48: 68400D2C
	v_mul_u32_u24_dpp v41, v20, v78 quad_perm:[0,0,0,0] row_mask:0xf bank_mask:0xf// 000000003A4C: 10529CFA FF000014
	v_add_u32_e32 v3, v41, v74                                 // 000000003A54: 68069529
	v_mul_u32_u24_dpp v41, v20, v78 quad_perm:[0,0,0,0] row_mask:0xf bank_mask:0xf// 000000003A58: 10529CFA FF000014
	v_add_u32_e32 v71, v41, v75                                // 000000003A60: 688E9729
	v_mfma_i32_16x16x32_i8 v[128:131], a[0:1], v[96:97], 0     // 000000003A64: D3D70080 0A02C100
	buffer_load_dwordx4 a[32:35], v29, s[16:19], 0 offen       // 000000003A6C: E05C1000 8084201D
	v_mfma_i32_16x16x32_i8 v[128:131], a[2:3], v[98:99], v[128:131]// 000000003A74: D3D70080 0E02C502
	v_mfma_i32_16x16x32_i8 v[128:131], a[4:5], v[100:101], v[128:131]// 000000003A7C: D3D70080 0E02C904
	buffer_load_dword v19, v1, s[24:27], 0 offen               // 000000003A84: E0501000 80061301
	v_mfma_i32_16x16x32_i8 v[128:131], a[6:7], v[102:103], v[128:131]// 000000003A8C: D3D70080 0E02CD06
	v_mfma_i32_16x16x32_i8 v[132:135], a[8:9], v[96:97], 0     // 000000003A94: D3D70084 0A02C108
	buffer_load_dwordx4 a[36:39], v29, s[16:19], 0 offen offset:1024// 000000003A9C: E05C1400 8084241D
	v_mfma_i32_16x16x32_i8 v[132:135], a[10:11], v[98:99], v[132:135]// 000000003AA4: D3D70084 0E12C50A
	v_mfma_i32_16x16x32_i8 v[132:135], a[12:13], v[100:101], v[132:135]// 000000003AAC: D3D70084 0E12C90C
	v_mfma_i32_16x16x32_i8 v[132:135], a[14:15], v[102:103], v[132:135]// 000000003AB4: D3D70084 0E12CD0E
	v_mfma_i32_16x16x32_i8 v[136:139], a[16:17], v[96:97], 0   // 000000003ABC: D3D70088 0A02C110
	buffer_load_dwordx4 a[40:43], v30, s[16:19], 0 offen       // 000000003AC4: E05C1000 8084281E
	v_mfma_i32_16x16x32_i8 v[136:139], a[18:19], v[98:99], v[136:139]// 000000003ACC: D3D70088 0E22C512
	v_mfma_i32_16x16x32_i8 v[136:139], a[20:21], v[100:101], v[136:139]// 000000003AD4: D3D70088 0E22C914
	v_mfma_i32_16x16x32_i8 v[136:139], a[22:23], v[102:103], v[136:139]// 000000003ADC: D3D70088 0E22CD16
	v_mfma_i32_16x16x32_i8 v[140:143], a[24:25], v[96:97], 0   // 000000003AE4: D3D7008C 0A02C118
	buffer_load_dwordx4 a[44:47], v30, s[16:19], 0 offen offset:1024// 000000003AEC: E05C1400 80842C1E
	v_mfma_i32_16x16x32_i8 v[140:143], a[26:27], v[98:99], v[140:143]// 000000003AF4: D3D7008C 0E32C51A
	v_mfma_i32_16x16x32_i8 v[140:143], a[28:29], v[100:101], v[140:143]// 000000003AFC: D3D7008C 0E32C91C
	v_mfma_i32_16x16x32_i8 v[140:143], a[30:31], v[102:103], v[140:143]// 000000003B04: D3D7008C 0E32CD1E
	buffer_load_dword v53, v3, s[32:35], 0 offen               // 000000003B0C: E0501000 80083503
	v_mov_b32_dpp v41, v52 row_shr:4 row_mask:0xf bank_mask:0xf// 000000003B14: 7E5202FA FF011434
	v_mov_b32_dpp v42, v52 row_shl:4 row_mask:0xf bank_mask:0xf// 000000003B1C: 7E5402FA FF010434
	v_cndmask_b32_e64 v248, v52, v41, s[44:45]                 // 000000003B24: D10000F8 00B25334
	v_cndmask_b32_e64 v249, v42, v52, s[44:45]                 // 000000003B2C: D10000F9 00B2692A
	v_mov_b32_dpp v41, v72 row_shr:4 row_mask:0xf bank_mask:0xf// 000000003B34: 7E5202FA FF011448
	v_mov_b32_dpp v42, v72 row_shl:4 row_mask:0xf bank_mask:0xf// 000000003B3C: 7E5402FA FF010448
	v_cndmask_b32_e64 v252, v72, v41, s[44:45]                 // 000000003B44: D10000FC 00B25348
	v_cndmask_b32_e64 v253, v42, v72, s[44:45]                 // 000000003B4C: D10000FD 00B2912A
	v_or_b32_dpp v128, v136, v128 row_shr:8 row_mask:0xf bank_mask:0xf bound_ctrl:1// 000000003B54: 290100FA FF091888
	v_or_b32_dpp v129, v137, v129 row_shr:8 row_mask:0xf bank_mask:0xf bound_ctrl:1// 000000003B5C: 290302FA FF091889
	v_or_b32_dpp v130, v138, v130 row_shr:8 row_mask:0xf bank_mask:0xf bound_ctrl:1// 000000003B64: 290504FA FF09188A
	v_or_b32_dpp v131, v139, v131 row_shr:8 row_mask:0xf bank_mask:0xf bound_ctrl:1// 000000003B6C: 290706FA FF09188B
	v_or_b32_dpp v132, v140, v132 row_shr:8 row_mask:0xf bank_mask:0xf bound_ctrl:1// 000000003B74: 290908FA FF09188C
	v_or_b32_dpp v133, v141, v133 row_shr:8 row_mask:0xf bank_mask:0xf bound_ctrl:1// 000000003B7C: 290B0AFA FF09188D
	v_or_b32_dpp v134, v142, v134 row_shr:8 row_mask:0xf bank_mask:0xf bound_ctrl:1// 000000003B84: 290D0CFA FF09188E
	v_or_b32_dpp v135, v143, v135 row_shr:8 row_mask:0xf bank_mask:0xf bound_ctrl:1// 000000003B8C: 290F0EFA FF09188F
	buffer_load_dword v73, v71, s[36:39], 0 offen              // 000000003B94: E0501000 80094947
	v_cvt_f32_i32_e32 v128, v128                               // 000000003B9C: 7F000B80
	v_cvt_f32_i32_e32 v129, v129                               // 000000003BA0: 7F020B81
	v_cvt_f32_i32_e32 v130, v130                               // 000000003BA4: 7F040B82
	v_cvt_f32_i32_e32 v131, v131                               // 000000003BA8: 7F060B83
	v_cvt_f32_i32_e32 v132, v132                               // 000000003BAC: 7F080B84
	v_cvt_f32_i32_e32 v133, v133                               // 000000003BB0: 7F0A0B85
	v_cvt_f32_i32_e32 v134, v134                               // 000000003BB4: 7F0C0B86
	v_cvt_f32_i32_e32 v135, v135                               // 000000003BB8: 7F0E0B87
	v_mul_f32_e32 v128, v54, v128                              // 000000003BBC: 0B010136
	v_mul_f32_e32 v129, v54, v129                              // 000000003BC0: 0B030336
	v_mul_f32_e32 v130, v54, v130                              // 000000003BC4: 0B050536
	v_mul_f32_e32 v131, v54, v131                              // 000000003BC8: 0B070736
	v_mul_f32_e32 v132, v54, v132                              // 000000003BCC: 0B090936
	v_mul_f32_e32 v133, v54, v133                              // 000000003BD0: 0B0B0B36
	v_mul_f32_e32 v134, v54, v134                              // 000000003BD4: 0B0D0D36
	v_mul_f32_e32 v135, v54, v135                              // 000000003BD8: 0B0F0F36
	buffer_load_dwordx4 a[48:51], v31, s[16:19], 0 offen       // 000000003BDC: E05C1000 8084301F
	v_mul_f32_dpp v128, v248, v128 quad_perm:[0,0,0,0] row_mask:0xf bank_mask:0xf// 000000003BE4: 0B0100FA FF0000F8
	v_mul_f32_dpp v129, v248, v129 quad_perm:[1,1,1,1] row_mask:0xf bank_mask:0xf// 000000003BEC: 0B0302FA FF0055F8
	v_mul_f32_dpp v130, v248, v130 quad_perm:[2,2,2,2] row_mask:0xf bank_mask:0xf// 000000003BF4: 0B0504FA FF00AAF8
	v_mul_f32_dpp v131, v248, v131 quad_perm:[3,3,3,3] row_mask:0xf bank_mask:0xf// 000000003BFC: 0B0706FA FF00FFF8
	v_mul_f32_dpp v132, v249, v132 quad_perm:[0,0,0,0] row_mask:0xf bank_mask:0xf// 000000003C04: 0B0908FA FF0000F9
	v_mul_f32_dpp v133, v249, v133 quad_perm:[1,1,1,1] row_mask:0xf bank_mask:0xf// 000000003C0C: 0B0B0AFA FF0055F9
	v_mul_f32_dpp v134, v249, v134 quad_perm:[2,2,2,2] row_mask:0xf bank_mask:0xf// 000000003C14: 0B0D0CFA FF00AAF9
	v_mul_f32_dpp v135, v249, v135 quad_perm:[3,3,3,3] row_mask:0xf bank_mask:0xf// 000000003C1C: 0B0F0EFA FF00FFF9
	buffer_load_dwordx4 a[52:55], v31, s[16:19], 0 offen offset:1024// 000000003C24: E05C1400 8084341F
	v_mov_b32_e32 v62, v128                                    // 000000003C2C: 7E7C0380
	v_max3_f32 v62, v128, v129, v62                            // 000000003C30: D1D3003E 04FB0380
	v_max3_f32 v62, v130, v131, v62                            // 000000003C38: D1D3003E 04FB0782
	v_max3_f32 v62, v132, v133, v62                            // 000000003C40: D1D3003E 04FB0B84
	v_max3_f32 v62, v134, v135, v62                            // 000000003C48: D1D3003E 04FB0F86
	ds_write_b32 v11, v62 offset:16896                         // 000000003C50: D81A4200 00003E0B
	buffer_load_dwordx4 a[56:59], v32, s[16:19], 0 offen       // 000000003C58: E05C1000 80843820
	v_mul_u32_u24_dpp v41, v20, v68 row_newbcast:1 row_mask:0xf bank_mask:0xf// 000000003C60: 105288FA FF015114
	v_mul_u32_u24_dpp v42, v20, v68 row_newbcast:5 row_mask:0xf bank_mask:0xf// 000000003C68: 105488FA FF015514
	v_mul_u32_u24_dpp v43, v20, v68 row_newbcast:9 row_mask:0xf bank_mask:0xf// 000000003C70: 105688FA FF015914
	v_mul_u32_u24_dpp v44, v20, v68 row_newbcast:13 row_mask:0xf bank_mask:0xf// 000000003C78: 105888FA FF015D14
	v_add_u32_e32 v37, v41, v7                                 // 000000003C80: 684A0F29
	v_add_u32_e32 v38, v42, v7                                 // 000000003C84: 684C0F2A
	v_add_u32_e32 v39, v43, v7                                 // 000000003C88: 684E0F2B
	v_add_u32_e32 v40, v44, v7                                 // 000000003C8C: 68500F2C
	s_waitcnt lgkmcnt(0)                                       // 000000003C90: BF8CC07F
	s_barrier                                                  // 000000003C94: BF8A0000
	ds_read_b32 v80, v10 offset:16896                          // 000000003C98: D86C4200 5000000A
	ds_read_b32 v81, v10 offset:16960                          // 000000003CA0: D86C4240 5100000A
	ds_read_b32 v82, v10 offset:17024                          // 000000003CA8: D86C4280 5200000A
	ds_read_b32 v83, v10 offset:17088                          // 000000003CB0: D86C42C0 5300000A
	ds_read_b32 v84, v10 offset:17152                          // 000000003CB8: D86C4300 5400000A
	ds_read_b32 v85, v10 offset:17216                          // 000000003CC0: D86C4340 5500000A
	ds_read_b32 v86, v10 offset:17280                          // 000000003CC8: D86C4380 5600000A
	ds_read_b32 v87, v10 offset:17344                          // 000000003CD0: D86C43C0 5700000A
	ds_read_b32 v88, v10 offset:17408                          // 000000003CD8: D86C4400 5800000A
	ds_read_b32 v89, v10 offset:17472                          // 000000003CE0: D86C4440 5900000A
	ds_read_b32 v90, v10 offset:17536                          // 000000003CE8: D86C4480 5A00000A
	ds_read_b32 v91, v10 offset:17600                          // 000000003CF0: D86C44C0 5B00000A
	ds_read_b32 v92, v10 offset:17664                          // 000000003CF8: D86C4500 5C00000A
	ds_read_b32 v93, v10 offset:17728                          // 000000003D00: D86C4540 5D00000A
	ds_read_b32 v94, v10 offset:17792                          // 000000003D08: D86C4580 5E00000A
	ds_read_b32 v95, v10 offset:17856                          // 000000003D10: D86C45C0 5F00000A
	buffer_load_dwordx4 a[60:63], v32, s[16:19], 0 offen offset:1024// 000000003D18: E05C1400 80843C20
	v_mul_f32_e32 v224, v63, v224                              // 000000003D20: 0BC1C13F
	v_mul_f32_e32 v225, v63, v225                              // 000000003D24: 0BC3C33F
	v_mul_f32_e32 v226, v63, v226                              // 000000003D28: 0BC5C53F
	v_mul_f32_e32 v227, v63, v227                              // 000000003D2C: 0BC7C73F
	v_or_b32_dpp v192, v196, v192 row_shr:8 row_mask:0xf bank_mask:0xf bound_ctrl:1// 000000003D30: 298180FA FF0918C4
	v_or_b32_dpp v193, v197, v193 row_shr:8 row_mask:0xf bank_mask:0xf bound_ctrl:1// 000000003D38: 298382FA FF0918C5
	v_or_b32_dpp v194, v198, v194 row_shr:8 row_mask:0xf bank_mask:0xf bound_ctrl:1// 000000003D40: 298584FA FF0918C6
	v_or_b32_dpp v195, v199, v195 row_shr:8 row_mask:0xf bank_mask:0xf bound_ctrl:1// 000000003D48: 298786FA FF0918C7
	s_waitcnt lgkmcnt(0)                                       // 000000003D50: BF8CC07F
	v_max3_f32 v62, v80, v81, v62                              // 000000003D54: D1D3003E 04FAA350
	v_max3_f32 v62, v82, v83, v62                              // 000000003D5C: D1D3003E 04FAA752
	v_max3_f32 v62, v84, v85, v62                              // 000000003D64: D1D3003E 04FAAB54
	v_max3_f32 v62, v86, v87, v62                              // 000000003D6C: D1D3003E 04FAAF56
	v_max3_f32 v62, v88, v89, v62                              // 000000003D74: D1D3003E 04FAB358
	v_max3_f32 v62, v90, v91, v62                              // 000000003D7C: D1D3003E 04FAB75A
	v_max3_f32 v62, v92, v93, v62                              // 000000003D84: D1D3003E 04FABB5C
	v_max3_f32 v62, v94, v95, v62                              // 000000003D8C: D1D3003E 04FABF5E
	buffer_load_dwordx4 a[96:99], v37, s[20:23], 0 offen       // 000000003D94: E05C1000 80856025
	v_cmp_eq_u32_e64 s[40:41], v69, v14                        // 000000003D9C: D0CA0028 00021D45
	s_nop 1                                                    // 000000003DA4: BF800001
	v_mov_b32_dpp v41, v62 row_ror:8 row_mask:0xf bank_mask:0xf// 000000003DA8: 7E5202FA FF01283E
	v_max_f32_e32 v62, v62, v41                                // 000000003DB0: 167C533E
	v_max_f32_e32 v18, v62, v14                                // 000000003DB4: 16241D3E
	v_mul_f32_e32 v67, s64, v18                                // 000000003DB8: 0A862440
	v_fma_f32 v128, v128, s64, -v67                            // 000000003DBC: D1CB0080 850C8180
	v_fma_f32 v129, v129, s64, -v67                            // 000000003DC4: D1CB0081 850C8181
	v_fma_f32 v130, v130, s64, -v67                            // 000000003DCC: D1CB0082 850C8182
	v_fma_f32 v131, v131, s64, -v67                            // 000000003DD4: D1CB0083 850C8183
	v_fma_f32 v132, v132, s64, -v67                            // 000000003DDC: D1CB0084 850C8184
	v_fma_f32 v133, v133, s64, -v67                            // 000000003DE4: D1CB0085 850C8185
	v_fma_f32 v134, v134, s64, -v67                            // 000000003DEC: D1CB0086 850C8186
	v_fma_f32 v135, v135, s64, -v67                            // 000000003DF4: D1CB0087 850C8187
	buffer_load_dwordx4 a[100:103], v38, s[20:23], 0 offen     // 000000003DFC: E05C1000 80856426
	v_exp_f32_e32 v128, v128                                   // 000000003E04: 7F004180
	v_exp_f32_e32 v129, v129                                   // 000000003E08: 7F024181
	v_exp_f32_e32 v130, v130                                   // 000000003E0C: 7F044182
	v_exp_f32_e32 v131, v131                                   // 000000003E10: 7F064183
	v_exp_f32_e32 v132, v132                                   // 000000003E14: 7F084184
	v_exp_f32_e32 v133, v133                                   // 000000003E18: 7F0A4185
	v_exp_f32_e32 v134, v134                                   // 000000003E1C: 7F0C4186
	v_exp_f32_e32 v135, v135                                   // 000000003E20: 7F0E4187
	buffer_load_dwordx4 a[104:107], v39, s[20:23], 0 offen     // 000000003E24: E05C1000 80856827
	v_mul_f32_dpp v240, v252, v128 quad_perm:[0,0,0,0] row_mask:0xf bank_mask:0xf// 000000003E2C: 0BE100FA FF0000FC
	v_mul_f32_dpp v241, v252, v129 quad_perm:[1,1,1,1] row_mask:0xf bank_mask:0xf// 000000003E34: 0BE302FA FF0055FC
	v_mul_f32_dpp v242, v252, v130 quad_perm:[2,2,2,2] row_mask:0xf bank_mask:0xf// 000000003E3C: 0BE504FA FF00AAFC
	v_mul_f32_dpp v243, v252, v131 quad_perm:[3,3,3,3] row_mask:0xf bank_mask:0xf// 000000003E44: 0BE706FA FF00FFFC
	v_mul_f32_dpp v244, v253, v132 quad_perm:[0,0,0,0] row_mask:0xf bank_mask:0xf// 000000003E4C: 0BE908FA FF0000FD
	v_mul_f32_dpp v245, v253, v133 quad_perm:[1,1,1,1] row_mask:0xf bank_mask:0xf// 000000003E54: 0BEB0AFA FF0055FD
	v_mul_f32_dpp v246, v253, v134 quad_perm:[2,2,2,2] row_mask:0xf bank_mask:0xf// 000000003E5C: 0BED0CFA FF00AAFD
	v_mul_f32_dpp v247, v253, v135 quad_perm:[3,3,3,3] row_mask:0xf bank_mask:0xf// 000000003E64: 0BEF0EFA FF00FFFD
	v_mov_b32_e32 v62, 0x358637bd                              // 000000003E6C: 7E7C02FF 358637BD
	v_max3_f32 v62, |v240|, |v241|, v62                        // 000000003E74: D1D3033E 04FBE3F0
	v_max3_f32 v62, |v242|, |v243|, v62                        // 000000003E7C: D1D3033E 04FBE7F2
	v_max3_f32 v62, |v244|, |v245|, v62                        // 000000003E84: D1D3033E 04FBEBF4
	v_max3_f32 v62, |v246|, |v247|, v62                        // 000000003E8C: D1D3033E 04FBEFF6
	buffer_load_dwordx4 a[108:111], v40, s[20:23], 0 offen     // 000000003E94: E05C1000 80856C28
	ds_write_b32 v11, v62 offset:20992                         // 000000003E9C: D81A5200 00003E0B
	v_sub_f32_e32 v63, v14, v18                                // 000000003EA4: 047E250E
	v_cndmask_b32_e64 v63, v63, 0, s[40:41]                    // 000000003EA8: D100003F 00A1013F
	v_mov_b32_e32 v14, v18                                     // 000000003EB0: 7E1C0312
	v_mul_f32_e32 v63, s64, v63                                // 000000003EB4: 0A7E7E40
	v_exp_f32_e32 v63, v63                                     // 000000003EB8: 7E7E413F
	s_waitcnt lgkmcnt(0)                                       // 000000003EBC: BF8CC07F
	s_barrier                                                  // 000000003EC0: BF8A0000
	ds_read_b32 v80, v10 offset:20992                          // 000000003EC4: D86C5200 5000000A
	ds_read_b32 v81, v10 offset:21056                          // 000000003ECC: D86C5240 5100000A
	ds_read_b32 v82, v10 offset:21120                          // 000000003ED4: D86C5280 5200000A
	ds_read_b32 v83, v10 offset:21184                          // 000000003EDC: D86C52C0 5300000A
	ds_read_b32 v84, v10 offset:21248                          // 000000003EE4: D86C5300 5400000A
	ds_read_b32 v85, v10 offset:21312                          // 000000003EEC: D86C5340 5500000A
	ds_read_b32 v86, v10 offset:21376                          // 000000003EF4: D86C5380 5600000A
	ds_read_b32 v87, v10 offset:21440                          // 000000003EFC: D86C53C0 5700000A
	ds_read_b32 v88, v10 offset:21504                          // 000000003F04: D86C5400 5800000A
	ds_read_b32 v89, v10 offset:21568                          // 000000003F0C: D86C5440 5900000A
	ds_read_b32 v90, v10 offset:21632                          // 000000003F14: D86C5480 5A00000A
	ds_read_b32 v91, v10 offset:21696                          // 000000003F1C: D86C54C0 5B00000A
	ds_read_b32 v92, v10 offset:21760                          // 000000003F24: D86C5500 5C00000A
	ds_read_b32 v93, v10 offset:21824                          // 000000003F2C: D86C5540 5D00000A
	ds_read_b32 v94, v10 offset:21888                          // 000000003F34: D86C5580 5E00000A
	ds_read_b32 v95, v10 offset:21952                          // 000000003F3C: D86C55C0 5F00000A
	v_mul_f32_e32 v47, v63, v47                                // 000000003F44: 0A5E5F3F
	v_mov_b32_e32 v51, v128                                    // 000000003F48: 7E660380
	v_add_f32_e32 v51, v129, v51                               // 000000003F4C: 02666781
	v_add_f32_e32 v51, v130, v51                               // 000000003F50: 02666782
	v_add_f32_e32 v51, v131, v51                               // 000000003F54: 02666783
	v_add_f32_e32 v51, v132, v51                               // 000000003F58: 02666784
	v_add_f32_e32 v51, v133, v51                               // 000000003F5C: 02666785
	v_add_f32_e32 v51, v134, v51                               // 000000003F60: 02666786
	v_add_f32_e32 v51, v135, v51                               // 000000003F64: 02666787
	v_add_f32_e32 v47, v51, v47                                // 000000003F68: 025E5F33
	s_waitcnt lgkmcnt(0)                                       // 000000003F6C: BF8CC07F
	v_max3_f32 v62, |v80|, |v81|, v62                          // 000000003F70: D1D3033E 04FAA350
	v_max3_f32 v62, |v82|, |v83|, v62                          // 000000003F78: D1D3033E 04FAA752
	v_max3_f32 v62, |v84|, |v85|, v62                          // 000000003F80: D1D3033E 04FAAB54
	v_max3_f32 v62, |v86|, |v87|, v62                          // 000000003F88: D1D3033E 04FAAF56
	v_max3_f32 v62, |v88|, |v89|, v62                          // 000000003F90: D1D3033E 04FAB358
	v_max3_f32 v62, |v90|, |v91|, v62                          // 000000003F98: D1D3033E 04FAB75A
	v_max3_f32 v62, |v92|, |v93|, v62                          // 000000003FA0: D1D3033E 04FABB5C
	v_max3_f32 v62, |v94|, |v95|, v62                          // 000000003FA8: D1D3033E 04FABF5E
	s_nop 2                                                    // 000000003FB0: BF800002
	v_mov_b32_dpp v41, v62 row_ror:8 row_mask:0xf bank_mask:0xf// 000000003FB4: 7E5202FA FF01283E
	v_max_f32_e32 v62, v62, v41                                // 000000003FBC: 167C533E
	v_rcp_f32_e32 v62, v62                                     // 000000003FC0: 7E7C453E
	s_nop 1                                                    // 000000003FC4: BF800001
	v_mul_f32_e32 v62, 0x42fe0000, v62                         // 000000003FC8: 0A7C7CFF 42FE0000
	v_mul_f32_e32 v128, v62, v240                              // 000000003FD0: 0B01E13E
	v_mul_f32_e32 v129, v62, v241                              // 000000003FD4: 0B03E33E
	v_mul_f32_e32 v130, v62, v242                              // 000000003FD8: 0B05E53E
	v_mul_f32_e32 v131, v62, v243                              // 000000003FDC: 0B07E73E
	v_mul_f32_e32 v132, v62, v244                              // 000000003FE0: 0B09E93E
	v_mul_f32_e32 v133, v62, v245                              // 000000003FE4: 0B0BEB3E
	v_mul_f32_e32 v134, v62, v246                              // 000000003FE8: 0B0DED3E
	v_mul_f32_e32 v135, v62, v247                              // 000000003FEC: 0B0FEF3E
	v_cvt_i32_f32_e32 v128, v128                               // 000000003FF0: 7F001180
	v_cvt_i32_f32_e32 v129, v129                               // 000000003FF4: 7F021181
	v_cvt_i32_f32_e32 v130, v130                               // 000000003FF8: 7F041182
	v_cvt_i32_f32_e32 v131, v131                               // 000000003FFC: 7F061183
	v_cvt_i32_f32_e32 v132, v132                               // 000000004000: 7F081184
	v_cvt_i32_f32_e32 v133, v133                               // 000000004004: 7F0A1185
	v_cvt_i32_f32_e32 v134, v134                               // 000000004008: 7F0C1186
	v_cvt_i32_f32_e32 v135, v135                               // 00000000400C: 7F0E1187
	v_perm_b32 v128, v129, v128, s53                           // 000000004010: D1ED0080 00D70181
	v_perm_b32 v128, v130, v128, s54                           // 000000004018: D1ED0080 00DB0182
	v_perm_b32 v128, v131, v128, s55                           // 000000004020: D1ED0080 00DF0183
	v_perm_b32 v129, v133, v132, s53                           // 000000004028: D1ED0081 00D70985
	v_perm_b32 v129, v134, v129, s54                           // 000000004030: D1ED0081 00DB0386
	v_perm_b32 v129, v135, v129, s55                           // 000000004038: D1ED0081 00DF0387
	ds_write_b32 v13, v128 offset:25088                        // 000000004040: D81A6200 0000800D
	ds_write_b32 v13, v129 offset:26112                        // 000000004048: D81A6600 0000810D
	v_cvt_f32_i32_e32 v192, v192                               // 000000004050: 7F800BC0
	v_cvt_f32_i32_e32 v193, v193                               // 000000004054: 7F820BC1
	v_cvt_f32_i32_e32 v194, v194                               // 000000004058: 7F840BC2
	v_cvt_f32_i32_e32 v195, v195                               // 00000000405C: 7F860BC3
	v_mul_f32_e32 v192, v58, v192                              // 000000004060: 0B81813A
	v_mul_f32_e32 v193, v58, v193                              // 000000004064: 0B83833A
	v_mul_f32_e32 v194, v58, v194                              // 000000004068: 0B85853A
	v_mul_f32_e32 v195, v58, v195                              // 00000000406C: 0B87873A
	v_rcp_f32_e32 v58, v62                                     // 000000004070: 7E74453E
	s_waitcnt lgkmcnt(0)                                       // 000000004074: BF8CC07F
	s_barrier                                                  // 000000004078: BF8A0000
	ds_read_b64 v[128:129], v12 offset:25088                   // 00000000407C: D8EC6200 8000000C
	ds_read_b64 v[130:131], v12 offset:25216                   // 000000004084: D8EC6280 8200000C
	ds_read_b64 v[132:133], v12 offset:26112                   // 00000000408C: D8EC6600 8400000C
	ds_read_b64 v[134:135], v12 offset:26240                   // 000000004094: D8EC6680 8600000C
	v_add_f32_e32 v224, v224, v192                             // 00000000409C: 03C181E0
	v_add_f32_e32 v225, v225, v193                             // 0000000040A0: 03C383E1
	v_add_f32_e32 v226, v226, v194                             // 0000000040A4: 03C585E2
	v_add_f32_e32 v227, v227, v195                             // 0000000040A8: 03C787E3
	s_waitcnt lgkmcnt(3)                                       // 0000000040AC: BF8CC37F
	v_mov_b32_dpp v136, v128 row_shl:8 row_mask:0xf bank_mask:0xf bound_ctrl:1// 0000000040B0: 7F1002FA FF090880
	v_and_b32_e32 v128, v128, v9                               // 0000000040B8: 27001380
	v_mov_b32_dpp v137, v129 row_shl:8 row_mask:0xf bank_mask:0xf bound_ctrl:1// 0000000040BC: 7F1202FA FF090881
	v_and_b32_e32 v129, v129, v9                               // 0000000040C4: 27021381
	s_waitcnt lgkmcnt(2)                                       // 0000000040C8: BF8CC27F
	v_mov_b32_dpp v138, v130 row_shl:8 row_mask:0xf bank_mask:0xf bound_ctrl:1// 0000000040CC: 7F1402FA FF090882
	v_and_b32_e32 v130, v130, v9                               // 0000000040D4: 27041382
	v_mov_b32_dpp v139, v131 row_shl:8 row_mask:0xf bank_mask:0xf bound_ctrl:1// 0000000040D8: 7F1602FA FF090883
	v_and_b32_e32 v131, v131, v9                               // 0000000040E0: 27061383
	s_waitcnt lgkmcnt(1)                                       // 0000000040E4: BF8CC17F
	v_mov_b32_dpp v140, v132 row_shl:8 row_mask:0xf bank_mask:0xf bound_ctrl:1// 0000000040E8: 7F1802FA FF090884
	v_and_b32_e32 v132, v132, v9                               // 0000000040F0: 27081384
	v_mov_b32_dpp v141, v133 row_shl:8 row_mask:0xf bank_mask:0xf bound_ctrl:1// 0000000040F4: 7F1A02FA FF090885
	v_and_b32_e32 v133, v133, v9                               // 0000000040FC: 270A1385
	s_waitcnt lgkmcnt(0)                                       // 000000004100: BF8CC07F
	v_mov_b32_dpp v142, v134 row_shl:8 row_mask:0xf bank_mask:0xf bound_ctrl:1// 000000004104: 7F1C02FA FF090886
	v_and_b32_e32 v134, v134, v9                               // 00000000410C: 270C1386
	v_mov_b32_dpp v143, v135 row_shl:8 row_mask:0xf bank_mask:0xf bound_ctrl:1// 000000004110: 7F1E02FA FF090887
	v_and_b32_e32 v135, v135, v9                               // 000000004118: 270E1387
	s_waitcnt vmcnt(15)                                        // 00000000411C: BF8C0F7F
	v_mfma_i32_16x16x32_i8 v[192:195], a[64:65], v[128:129], 0 // 000000004120: D3D700C0 0A030140
	buffer_load_dwordx4 a[112:115], v37, s[20:23], 0 offen offset:1024// 000000004128: E05C1400 80857025
	v_mfma_i32_16x16x32_i8 v[192:195], a[66:67], v[130:131], v[192:195]// 000000004130: D3D700C0 0F030542
	v_mfma_i32_16x16x32_i8 v[192:195], a[68:69], v[132:133], v[192:195]// 000000004138: D3D700C0 0F030944
	v_mfma_i32_16x16x32_i8 v[192:195], a[70:71], v[134:135], v[192:195]// 000000004140: D3D700C0 0F030D46
	v_mfma_i32_16x16x32_i8 v[192:195], a[72:73], v[136:137], v[192:195]// 000000004148: D3D700C0 0F031148
	buffer_load_dwordx4 a[116:119], v38, s[20:23], 0 offen offset:1024// 000000004150: E05C1400 80857426
	v_mfma_i32_16x16x32_i8 v[192:195], a[74:75], v[138:139], v[192:195]// 000000004158: D3D700C0 0F03154A
	v_mfma_i32_16x16x32_i8 v[192:195], a[76:77], v[140:141], v[192:195]// 000000004160: D3D700C0 0F03194C
	v_mfma_i32_16x16x32_i8 v[192:195], a[78:79], v[142:143], v[192:195]// 000000004168: D3D700C0 0F031D4E
	v_mfma_i32_16x16x32_i8 v[196:199], a[80:81], v[128:129], 0 // 000000004170: D3D700C4 0A030150
	buffer_load_dwordx4 a[120:123], v39, s[20:23], 0 offen offset:1024// 000000004178: E05C1400 80857827
	v_mfma_i32_16x16x32_i8 v[196:199], a[82:83], v[130:131], v[196:199]// 000000004180: D3D700C4 0F130552
	v_mfma_i32_16x16x32_i8 v[196:199], a[84:85], v[132:133], v[196:199]// 000000004188: D3D700C4 0F130954
	v_mfma_i32_16x16x32_i8 v[196:199], a[86:87], v[134:135], v[196:199]// 000000004190: D3D700C4 0F130D56
	v_mfma_i32_16x16x32_i8 v[196:199], a[88:89], v[136:137], v[196:199]// 000000004198: D3D700C4 0F131158
	buffer_load_dwordx4 a[124:127], v40, s[20:23], 0 offen offset:1024// 0000000041A0: E05C1400 80857C28
	v_mfma_i32_16x16x32_i8 v[196:199], a[90:91], v[138:139], v[196:199]// 0000000041A8: D3D700C4 0F13155A
	v_mfma_i32_16x16x32_i8 v[196:199], a[92:93], v[140:141], v[196:199]// 0000000041B0: D3D700C4 0F13195C
	s_lshr_b32 s57, s70, 4                                     // 0000000041B8: 8F398446
	s_add_u32 s57, 48, s57                                     // 0000000041BC: 803939B0
	v_mfma_i32_16x16x32_i8 v[196:199], a[94:95], v[142:143], v[196:199]// 0000000041C0: D3D700C4 0F131D5E
	s_cmp_ge_u32 s57, s73                                      // 0000000041C8: BF094939
	s_cselect_b32 s56, 0, s56                                  // 0000000041CC: 85383880
	v_add_u32_e32 v1, s56, v1                                  // 0000000041D0: 68020238
	s_addk_i32 s70, 0x100                                      // 0000000041D4: B7460100
	s_cmp_lt_i32 s70, s71                                      // 0000000041D8: BF044746
	s_cbranch_scc0 label_0603                                  // 0000000041DC: BF84FE0B
	s_waitcnt vmcnt(8) lgkmcnt(0)                              // 0000000041E0: BF8C0078
	v_mul_u32_u24_dpp v41, v19, v68 row_newbcast:0 row_mask:0xf bank_mask:0xf// 0000000041E4: 105288FA FF015013
	v_mul_u32_u24_dpp v42, v19, v68 row_newbcast:4 row_mask:0xf bank_mask:0xf// 0000000041EC: 105488FA FF015413
	v_mul_u32_u24_dpp v43, v19, v68 row_newbcast:8 row_mask:0xf bank_mask:0xf// 0000000041F4: 105688FA FF015813
	v_mul_u32_u24_dpp v44, v19, v68 row_newbcast:12 row_mask:0xf bank_mask:0xf// 0000000041FC: 105888FA FF015C13
	v_add_u32_e32 v25, v41, v6                                 // 000000004204: 68320D29
	v_add_u32_e32 v26, v42, v6                                 // 000000004208: 68340D2A
	v_add_u32_e32 v27, v43, v6                                 // 00000000420C: 68360D2B
	v_add_u32_e32 v28, v44, v6                                 // 000000004210: 68380D2C
	v_mul_u32_u24_dpp v41, v19, v78 quad_perm:[0,0,0,0] row_mask:0xf bank_mask:0xf// 000000004214: 10529CFA FF000013
	v_add_u32_e32 v2, v41, v74                                 // 00000000421C: 68049529
	v_mul_u32_u24_dpp v41, v19, v78 quad_perm:[0,0,0,0] row_mask:0xf bank_mask:0xf// 000000004220: 10529CFA FF000013
	v_add_u32_e32 v70, v41, v75                                // 000000004228: 688C9729
	v_mfma_i32_16x16x32_i8 v[128:131], a[32:33], v[96:97], 0   // 00000000422C: D3D70080 0A02C120
	buffer_load_dwordx4 a[0:3], v25, s[16:19], 0 offen         // 000000004234: E05C1000 80840019
	v_mfma_i32_16x16x32_i8 v[128:131], a[34:35], v[98:99], v[128:131]// 00000000423C: D3D70080 0E02C522
	v_mfma_i32_16x16x32_i8 v[128:131], a[36:37], v[100:101], v[128:131]// 000000004244: D3D70080 0E02C924
	buffer_load_dword v20, v1, s[24:27], 0 offen               // 00000000424C: E0501000 80061401
	v_mfma_i32_16x16x32_i8 v[128:131], a[38:39], v[102:103], v[128:131]// 000000004254: D3D70080 0E02CD26
	v_mfma_i32_16x16x32_i8 v[132:135], a[40:41], v[96:97], 0   // 00000000425C: D3D70084 0A02C128
	buffer_load_dwordx4 a[4:7], v25, s[16:19], 0 offen offset:1024// 000000004264: E05C1400 80840419
	v_mfma_i32_16x16x32_i8 v[132:135], a[42:43], v[98:99], v[132:135]// 00000000426C: D3D70084 0E12C52A
	v_mfma_i32_16x16x32_i8 v[132:135], a[44:45], v[100:101], v[132:135]// 000000004274: D3D70084 0E12C92C
	v_mfma_i32_16x16x32_i8 v[132:135], a[46:47], v[102:103], v[132:135]// 00000000427C: D3D70084 0E12CD2E
	v_mfma_i32_16x16x32_i8 v[136:139], a[48:49], v[96:97], 0   // 000000004284: D3D70088 0A02C130
	buffer_load_dwordx4 a[8:11], v26, s[16:19], 0 offen        // 00000000428C: E05C1000 8084081A
	v_mfma_i32_16x16x32_i8 v[136:139], a[50:51], v[98:99], v[136:139]// 000000004294: D3D70088 0E22C532
	v_mfma_i32_16x16x32_i8 v[136:139], a[52:53], v[100:101], v[136:139]// 00000000429C: D3D70088 0E22C934
	v_mfma_i32_16x16x32_i8 v[136:139], a[54:55], v[102:103], v[136:139]// 0000000042A4: D3D70088 0E22CD36
	v_mfma_i32_16x16x32_i8 v[140:143], a[56:57], v[96:97], 0   // 0000000042AC: D3D7008C 0A02C138
	buffer_load_dwordx4 a[12:15], v26, s[16:19], 0 offen offset:1024// 0000000042B4: E05C1400 80840C1A
	v_mfma_i32_16x16x32_i8 v[140:143], a[58:59], v[98:99], v[140:143]// 0000000042BC: D3D7008C 0E32C53A
	v_mfma_i32_16x16x32_i8 v[140:143], a[60:61], v[100:101], v[140:143]// 0000000042C4: D3D7008C 0E32C93C
	v_mfma_i32_16x16x32_i8 v[140:143], a[62:63], v[102:103], v[140:143]// 0000000042CC: D3D7008C 0E32CD3E
	buffer_load_dword v52, v2, s[32:35], 0 offen               // 0000000042D4: E0501000 80083402
	v_mov_b32_dpp v41, v53 row_shr:4 row_mask:0xf bank_mask:0xf// 0000000042DC: 7E5202FA FF011435
	v_mov_b32_dpp v42, v53 row_shl:4 row_mask:0xf bank_mask:0xf// 0000000042E4: 7E5402FA FF010435
	v_cndmask_b32_e64 v248, v53, v41, s[44:45]                 // 0000000042EC: D10000F8 00B25335
	v_cndmask_b32_e64 v249, v42, v53, s[44:45]                 // 0000000042F4: D10000F9 00B26B2A
	v_mov_b32_dpp v41, v73 row_shr:4 row_mask:0xf bank_mask:0xf// 0000000042FC: 7E5202FA FF011449
	v_mov_b32_dpp v42, v73 row_shl:4 row_mask:0xf bank_mask:0xf// 000000004304: 7E5402FA FF010449
	v_cndmask_b32_e64 v252, v73, v41, s[44:45]                 // 00000000430C: D10000FC 00B25349
	v_cndmask_b32_e64 v253, v42, v73, s[44:45]                 // 000000004314: D10000FD 00B2932A
	v_or_b32_dpp v128, v136, v128 row_shr:8 row_mask:0xf bank_mask:0xf bound_ctrl:1// 00000000431C: 290100FA FF091888
	v_or_b32_dpp v129, v137, v129 row_shr:8 row_mask:0xf bank_mask:0xf bound_ctrl:1// 000000004324: 290302FA FF091889
	v_or_b32_dpp v130, v138, v130 row_shr:8 row_mask:0xf bank_mask:0xf bound_ctrl:1// 00000000432C: 290504FA FF09188A
	v_or_b32_dpp v131, v139, v131 row_shr:8 row_mask:0xf bank_mask:0xf bound_ctrl:1// 000000004334: 290706FA FF09188B
	v_or_b32_dpp v132, v140, v132 row_shr:8 row_mask:0xf bank_mask:0xf bound_ctrl:1// 00000000433C: 290908FA FF09188C
	v_or_b32_dpp v133, v141, v133 row_shr:8 row_mask:0xf bank_mask:0xf bound_ctrl:1// 000000004344: 290B0AFA FF09188D
	v_or_b32_dpp v134, v142, v134 row_shr:8 row_mask:0xf bank_mask:0xf bound_ctrl:1// 00000000434C: 290D0CFA FF09188E
	v_or_b32_dpp v135, v143, v135 row_shr:8 row_mask:0xf bank_mask:0xf bound_ctrl:1// 000000004354: 290F0EFA FF09188F
	buffer_load_dword v72, v70, s[36:39], 0 offen              // 00000000435C: E0501000 80094846
	v_cvt_f32_i32_e32 v128, v128                               // 000000004364: 7F000B80
	v_cvt_f32_i32_e32 v129, v129                               // 000000004368: 7F020B81
	v_cvt_f32_i32_e32 v130, v130                               // 00000000436C: 7F040B82
	v_cvt_f32_i32_e32 v131, v131                               // 000000004370: 7F060B83
	v_cvt_f32_i32_e32 v132, v132                               // 000000004374: 7F080B84
	v_cvt_f32_i32_e32 v133, v133                               // 000000004378: 7F0A0B85
	v_cvt_f32_i32_e32 v134, v134                               // 00000000437C: 7F0C0B86
	v_cvt_f32_i32_e32 v135, v135                               // 000000004380: 7F0E0B87
	v_mul_f32_e32 v128, v54, v128                              // 000000004384: 0B010136
	v_mul_f32_e32 v129, v54, v129                              // 000000004388: 0B030336
	v_mul_f32_e32 v130, v54, v130                              // 00000000438C: 0B050536
	v_mul_f32_e32 v131, v54, v131                              // 000000004390: 0B070736
	v_mul_f32_e32 v132, v54, v132                              // 000000004394: 0B090936
	v_mul_f32_e32 v133, v54, v133                              // 000000004398: 0B0B0B36
	v_mul_f32_e32 v134, v54, v134                              // 00000000439C: 0B0D0D36
	v_mul_f32_e32 v135, v54, v135                              // 0000000043A0: 0B0F0F36
	buffer_load_dwordx4 a[16:19], v27, s[16:19], 0 offen       // 0000000043A4: E05C1000 8084101B
	v_mul_f32_dpp v128, v248, v128 quad_perm:[0,0,0,0] row_mask:0xf bank_mask:0xf// 0000000043AC: 0B0100FA FF0000F8
	v_mul_f32_dpp v129, v248, v129 quad_perm:[1,1,1,1] row_mask:0xf bank_mask:0xf// 0000000043B4: 0B0302FA FF0055F8
	v_mul_f32_dpp v130, v248, v130 quad_perm:[2,2,2,2] row_mask:0xf bank_mask:0xf// 0000000043BC: 0B0504FA FF00AAF8
	v_mul_f32_dpp v131, v248, v131 quad_perm:[3,3,3,3] row_mask:0xf bank_mask:0xf// 0000000043C4: 0B0706FA FF00FFF8
	v_mul_f32_dpp v132, v249, v132 quad_perm:[0,0,0,0] row_mask:0xf bank_mask:0xf// 0000000043CC: 0B0908FA FF0000F9
	v_mul_f32_dpp v133, v249, v133 quad_perm:[1,1,1,1] row_mask:0xf bank_mask:0xf// 0000000043D4: 0B0B0AFA FF0055F9
	v_mul_f32_dpp v134, v249, v134 quad_perm:[2,2,2,2] row_mask:0xf bank_mask:0xf// 0000000043DC: 0B0D0CFA FF00AAF9
	v_mul_f32_dpp v135, v249, v135 quad_perm:[3,3,3,3] row_mask:0xf bank_mask:0xf// 0000000043E4: 0B0F0EFA FF00FFF9
	buffer_load_dwordx4 a[20:23], v27, s[16:19], 0 offen offset:1024// 0000000043EC: E05C1400 8084141B
	v_mov_b32_e32 v62, v128                                    // 0000000043F4: 7E7C0380
	v_max3_f32 v62, v128, v129, v62                            // 0000000043F8: D1D3003E 04FB0380
	v_max3_f32 v62, v130, v131, v62                            // 000000004400: D1D3003E 04FB0782
	v_max3_f32 v62, v132, v133, v62                            // 000000004408: D1D3003E 04FB0B84
	v_max3_f32 v62, v134, v135, v62                            // 000000004410: D1D3003E 04FB0F86
	ds_write_b32 v11, v62 offset:16896                         // 000000004418: D81A4200 00003E0B
	buffer_load_dwordx4 a[24:27], v28, s[16:19], 0 offen       // 000000004420: E05C1000 8084181C
	v_mul_u32_u24_dpp v41, v19, v68 row_newbcast:1 row_mask:0xf bank_mask:0xf// 000000004428: 105288FA FF015113
	v_mul_u32_u24_dpp v42, v19, v68 row_newbcast:5 row_mask:0xf bank_mask:0xf// 000000004430: 105488FA FF015513
	v_mul_u32_u24_dpp v43, v19, v68 row_newbcast:9 row_mask:0xf bank_mask:0xf// 000000004438: 105688FA FF015913
	v_mul_u32_u24_dpp v44, v19, v68 row_newbcast:13 row_mask:0xf bank_mask:0xf// 000000004440: 105888FA FF015D13
	v_add_u32_e32 v33, v41, v7                                 // 000000004448: 68420F29
	v_add_u32_e32 v34, v42, v7                                 // 00000000444C: 68440F2A
	v_add_u32_e32 v35, v43, v7                                 // 000000004450: 68460F2B
	v_add_u32_e32 v36, v44, v7                                 // 000000004454: 68480F2C
	s_waitcnt lgkmcnt(0)                                       // 000000004458: BF8CC07F
	s_barrier                                                  // 00000000445C: BF8A0000
	ds_read_b32 v80, v10 offset:16896                          // 000000004460: D86C4200 5000000A
	ds_read_b32 v81, v10 offset:16960                          // 000000004468: D86C4240 5100000A
	ds_read_b32 v82, v10 offset:17024                          // 000000004470: D86C4280 5200000A
	ds_read_b32 v83, v10 offset:17088                          // 000000004478: D86C42C0 5300000A
	ds_read_b32 v84, v10 offset:17152                          // 000000004480: D86C4300 5400000A
	ds_read_b32 v85, v10 offset:17216                          // 000000004488: D86C4340 5500000A
	ds_read_b32 v86, v10 offset:17280                          // 000000004490: D86C4380 5600000A
	ds_read_b32 v87, v10 offset:17344                          // 000000004498: D86C43C0 5700000A
	ds_read_b32 v88, v10 offset:17408                          // 0000000044A0: D86C4400 5800000A
	ds_read_b32 v89, v10 offset:17472                          // 0000000044A8: D86C4440 5900000A
	ds_read_b32 v90, v10 offset:17536                          // 0000000044B0: D86C4480 5A00000A
	ds_read_b32 v91, v10 offset:17600                          // 0000000044B8: D86C44C0 5B00000A
	ds_read_b32 v92, v10 offset:17664                          // 0000000044C0: D86C4500 5C00000A
	ds_read_b32 v93, v10 offset:17728                          // 0000000044C8: D86C4540 5D00000A
	ds_read_b32 v94, v10 offset:17792                          // 0000000044D0: D86C4580 5E00000A
	ds_read_b32 v95, v10 offset:17856                          // 0000000044D8: D86C45C0 5F00000A
	buffer_load_dwordx4 a[28:31], v28, s[16:19], 0 offen offset:1024// 0000000044E0: E05C1400 80841C1C
	v_mul_f32_e32 v224, v63, v224                              // 0000000044E8: 0BC1C13F
	v_mul_f32_e32 v225, v63, v225                              // 0000000044EC: 0BC3C33F
	v_mul_f32_e32 v226, v63, v226                              // 0000000044F0: 0BC5C53F
	v_mul_f32_e32 v227, v63, v227                              // 0000000044F4: 0BC7C73F
	v_or_b32_dpp v192, v196, v192 row_shr:8 row_mask:0xf bank_mask:0xf bound_ctrl:1// 0000000044F8: 298180FA FF0918C4
	v_or_b32_dpp v193, v197, v193 row_shr:8 row_mask:0xf bank_mask:0xf bound_ctrl:1// 000000004500: 298382FA FF0918C5
	v_or_b32_dpp v194, v198, v194 row_shr:8 row_mask:0xf bank_mask:0xf bound_ctrl:1// 000000004508: 298584FA FF0918C6
	v_or_b32_dpp v195, v199, v195 row_shr:8 row_mask:0xf bank_mask:0xf bound_ctrl:1// 000000004510: 298786FA FF0918C7
	s_waitcnt lgkmcnt(0)                                       // 000000004518: BF8CC07F
	v_max3_f32 v62, v80, v81, v62                              // 00000000451C: D1D3003E 04FAA350
	v_max3_f32 v62, v82, v83, v62                              // 000000004524: D1D3003E 04FAA752
	v_max3_f32 v62, v84, v85, v62                              // 00000000452C: D1D3003E 04FAAB54
	v_max3_f32 v62, v86, v87, v62                              // 000000004534: D1D3003E 04FAAF56
	v_max3_f32 v62, v88, v89, v62                              // 00000000453C: D1D3003E 04FAB358
	v_max3_f32 v62, v90, v91, v62                              // 000000004544: D1D3003E 04FAB75A
	v_max3_f32 v62, v92, v93, v62                              // 00000000454C: D1D3003E 04FABB5C
	v_max3_f32 v62, v94, v95, v62                              // 000000004554: D1D3003E 04FABF5E
	buffer_load_dwordx4 a[64:67], v33, s[20:23], 0 offen       // 00000000455C: E05C1000 80854021
	v_cmp_eq_u32_e64 s[40:41], v69, v14                        // 000000004564: D0CA0028 00021D45
	s_nop 1                                                    // 00000000456C: BF800001
	v_mov_b32_dpp v41, v62 row_ror:8 row_mask:0xf bank_mask:0xf// 000000004570: 7E5202FA FF01283E
	v_max_f32_e32 v62, v62, v41                                // 000000004578: 167C533E
	v_max_f32_e32 v18, v62, v14                                // 00000000457C: 16241D3E
	v_mul_f32_e32 v67, s64, v18                                // 000000004580: 0A862440
	v_fma_f32 v128, v128, s64, -v67                            // 000000004584: D1CB0080 850C8180
	v_fma_f32 v129, v129, s64, -v67                            // 00000000458C: D1CB0081 850C8181
	v_fma_f32 v130, v130, s64, -v67                            // 000000004594: D1CB0082 850C8182
	v_fma_f32 v131, v131, s64, -v67                            // 00000000459C: D1CB0083 850C8183
	v_fma_f32 v132, v132, s64, -v67                            // 0000000045A4: D1CB0084 850C8184
	v_fma_f32 v133, v133, s64, -v67                            // 0000000045AC: D1CB0085 850C8185
	v_fma_f32 v134, v134, s64, -v67                            // 0000000045B4: D1CB0086 850C8186
	v_fma_f32 v135, v135, s64, -v67                            // 0000000045BC: D1CB0087 850C8187
	buffer_load_dwordx4 a[68:71], v34, s[20:23], 0 offen       // 0000000045C4: E05C1000 80854422
	v_exp_f32_e32 v128, v128                                   // 0000000045CC: 7F004180
	v_exp_f32_e32 v129, v129                                   // 0000000045D0: 7F024181
	v_exp_f32_e32 v130, v130                                   // 0000000045D4: 7F044182
	v_exp_f32_e32 v131, v131                                   // 0000000045D8: 7F064183
	v_exp_f32_e32 v132, v132                                   // 0000000045DC: 7F084184
	v_exp_f32_e32 v133, v133                                   // 0000000045E0: 7F0A4185
	v_exp_f32_e32 v134, v134                                   // 0000000045E4: 7F0C4186
	v_exp_f32_e32 v135, v135                                   // 0000000045E8: 7F0E4187
	buffer_load_dwordx4 a[72:75], v35, s[20:23], 0 offen       // 0000000045EC: E05C1000 80854823
	v_mul_f32_dpp v240, v252, v128 quad_perm:[0,0,0,0] row_mask:0xf bank_mask:0xf// 0000000045F4: 0BE100FA FF0000FC
	v_mul_f32_dpp v241, v252, v129 quad_perm:[1,1,1,1] row_mask:0xf bank_mask:0xf// 0000000045FC: 0BE302FA FF0055FC
	v_mul_f32_dpp v242, v252, v130 quad_perm:[2,2,2,2] row_mask:0xf bank_mask:0xf// 000000004604: 0BE504FA FF00AAFC
	v_mul_f32_dpp v243, v252, v131 quad_perm:[3,3,3,3] row_mask:0xf bank_mask:0xf// 00000000460C: 0BE706FA FF00FFFC
	v_mul_f32_dpp v244, v253, v132 quad_perm:[0,0,0,0] row_mask:0xf bank_mask:0xf// 000000004614: 0BE908FA FF0000FD
	v_mul_f32_dpp v245, v253, v133 quad_perm:[1,1,1,1] row_mask:0xf bank_mask:0xf// 00000000461C: 0BEB0AFA FF0055FD
	v_mul_f32_dpp v246, v253, v134 quad_perm:[2,2,2,2] row_mask:0xf bank_mask:0xf// 000000004624: 0BED0CFA FF00AAFD
	v_mul_f32_dpp v247, v253, v135 quad_perm:[3,3,3,3] row_mask:0xf bank_mask:0xf// 00000000462C: 0BEF0EFA FF00FFFD
	v_mov_b32_e32 v62, 0x358637bd                              // 000000004634: 7E7C02FF 358637BD
	v_max3_f32 v62, |v240|, |v241|, v62                        // 00000000463C: D1D3033E 04FBE3F0
	v_max3_f32 v62, |v242|, |v243|, v62                        // 000000004644: D1D3033E 04FBE7F2
	v_max3_f32 v62, |v244|, |v245|, v62                        // 00000000464C: D1D3033E 04FBEBF4
	v_max3_f32 v62, |v246|, |v247|, v62                        // 000000004654: D1D3033E 04FBEFF6
	buffer_load_dwordx4 a[76:79], v36, s[20:23], 0 offen       // 00000000465C: E05C1000 80854C24
	ds_write_b32 v11, v62 offset:20992                         // 000000004664: D81A5200 00003E0B
	v_sub_f32_e32 v63, v14, v18                                // 00000000466C: 047E250E
	v_cndmask_b32_e64 v63, v63, 0, s[40:41]                    // 000000004670: D100003F 00A1013F
	v_mov_b32_e32 v14, v18                                     // 000000004678: 7E1C0312
	v_mul_f32_e32 v63, s64, v63                                // 00000000467C: 0A7E7E40
	v_exp_f32_e32 v63, v63                                     // 000000004680: 7E7E413F
	s_waitcnt lgkmcnt(0)                                       // 000000004684: BF8CC07F
	s_barrier                                                  // 000000004688: BF8A0000
	ds_read_b32 v80, v10 offset:20992                          // 00000000468C: D86C5200 5000000A
	ds_read_b32 v81, v10 offset:21056                          // 000000004694: D86C5240 5100000A
	ds_read_b32 v82, v10 offset:21120                          // 00000000469C: D86C5280 5200000A
	ds_read_b32 v83, v10 offset:21184                          // 0000000046A4: D86C52C0 5300000A
	ds_read_b32 v84, v10 offset:21248                          // 0000000046AC: D86C5300 5400000A
	ds_read_b32 v85, v10 offset:21312                          // 0000000046B4: D86C5340 5500000A
	ds_read_b32 v86, v10 offset:21376                          // 0000000046BC: D86C5380 5600000A
	ds_read_b32 v87, v10 offset:21440                          // 0000000046C4: D86C53C0 5700000A
	ds_read_b32 v88, v10 offset:21504                          // 0000000046CC: D86C5400 5800000A
	ds_read_b32 v89, v10 offset:21568                          // 0000000046D4: D86C5440 5900000A
	ds_read_b32 v90, v10 offset:21632                          // 0000000046DC: D86C5480 5A00000A
	ds_read_b32 v91, v10 offset:21696                          // 0000000046E4: D86C54C0 5B00000A
	ds_read_b32 v92, v10 offset:21760                          // 0000000046EC: D86C5500 5C00000A
	ds_read_b32 v93, v10 offset:21824                          // 0000000046F4: D86C5540 5D00000A
	ds_read_b32 v94, v10 offset:21888                          // 0000000046FC: D86C5580 5E00000A
	ds_read_b32 v95, v10 offset:21952                          // 000000004704: D86C55C0 5F00000A
	v_mul_f32_e32 v47, v63, v47                                // 00000000470C: 0A5E5F3F
	v_mov_b32_e32 v51, v128                                    // 000000004710: 7E660380
	v_add_f32_e32 v51, v129, v51                               // 000000004714: 02666781
	v_add_f32_e32 v51, v130, v51                               // 000000004718: 02666782
	v_add_f32_e32 v51, v131, v51                               // 00000000471C: 02666783
	v_add_f32_e32 v51, v132, v51                               // 000000004720: 02666784
	v_add_f32_e32 v51, v133, v51                               // 000000004724: 02666785
	;; [unrolled: 1-line block ×3, first 2 shown]
	v_add_f32_e32 v51, v135, v51                               // 00000000472C: 02666787
	v_add_f32_e32 v47, v51, v47                                // 000000004730: 025E5F33
	s_waitcnt lgkmcnt(0)                                       // 000000004734: BF8CC07F
	v_max3_f32 v62, |v80|, |v81|, v62                          // 000000004738: D1D3033E 04FAA350
	v_max3_f32 v62, |v82|, |v83|, v62                          // 000000004740: D1D3033E 04FAA752
	v_max3_f32 v62, |v84|, |v85|, v62                          // 000000004748: D1D3033E 04FAAB54
	v_max3_f32 v62, |v86|, |v87|, v62                          // 000000004750: D1D3033E 04FAAF56
	v_max3_f32 v62, |v88|, |v89|, v62                          // 000000004758: D1D3033E 04FAB358
	v_max3_f32 v62, |v90|, |v91|, v62                          // 000000004760: D1D3033E 04FAB75A
	v_max3_f32 v62, |v92|, |v93|, v62                          // 000000004768: D1D3033E 04FABB5C
	v_max3_f32 v62, |v94|, |v95|, v62                          // 000000004770: D1D3033E 04FABF5E
	s_nop 2                                                    // 000000004778: BF800002
	v_mov_b32_dpp v41, v62 row_ror:8 row_mask:0xf bank_mask:0xf// 00000000477C: 7E5202FA FF01283E
	v_max_f32_e32 v62, v62, v41                                // 000000004784: 167C533E
	v_rcp_f32_e32 v62, v62                                     // 000000004788: 7E7C453E
	s_nop 1                                                    // 00000000478C: BF800001
	v_mul_f32_e32 v62, 0x42fe0000, v62                         // 000000004790: 0A7C7CFF 42FE0000
	v_mul_f32_e32 v128, v62, v240                              // 000000004798: 0B01E13E
	v_mul_f32_e32 v129, v62, v241                              // 00000000479C: 0B03E33E
	v_mul_f32_e32 v130, v62, v242                              // 0000000047A0: 0B05E53E
	v_mul_f32_e32 v131, v62, v243                              // 0000000047A4: 0B07E73E
	v_mul_f32_e32 v132, v62, v244                              // 0000000047A8: 0B09E93E
	v_mul_f32_e32 v133, v62, v245                              // 0000000047AC: 0B0BEB3E
	v_mul_f32_e32 v134, v62, v246                              // 0000000047B0: 0B0DED3E
	v_mul_f32_e32 v135, v62, v247                              // 0000000047B4: 0B0FEF3E
	v_cvt_i32_f32_e32 v128, v128                               // 0000000047B8: 7F001180
	v_cvt_i32_f32_e32 v129, v129                               // 0000000047BC: 7F021181
	v_cvt_i32_f32_e32 v130, v130                               // 0000000047C0: 7F041182
	v_cvt_i32_f32_e32 v131, v131                               // 0000000047C4: 7F061183
	v_cvt_i32_f32_e32 v132, v132                               // 0000000047C8: 7F081184
	v_cvt_i32_f32_e32 v133, v133                               // 0000000047CC: 7F0A1185
	v_cvt_i32_f32_e32 v134, v134                               // 0000000047D0: 7F0C1186
	v_cvt_i32_f32_e32 v135, v135                               // 0000000047D4: 7F0E1187
	v_perm_b32 v128, v129, v128, s53                           // 0000000047D8: D1ED0080 00D70181
	v_perm_b32 v128, v130, v128, s54                           // 0000000047E0: D1ED0080 00DB0182
	v_perm_b32 v128, v131, v128, s55                           // 0000000047E8: D1ED0080 00DF0183
	v_perm_b32 v129, v133, v132, s53                           // 0000000047F0: D1ED0081 00D70985
	v_perm_b32 v129, v134, v129, s54                           // 0000000047F8: D1ED0081 00DB0386
	v_perm_b32 v129, v135, v129, s55                           // 000000004800: D1ED0081 00DF0387
	ds_write_b32 v13, v128 offset:25088                        // 000000004808: D81A6200 0000800D
	ds_write_b32 v13, v129 offset:26112                        // 000000004810: D81A6600 0000810D
	v_cvt_f32_i32_e32 v192, v192                               // 000000004818: 7F800BC0
	v_cvt_f32_i32_e32 v193, v193                               // 00000000481C: 7F820BC1
	v_cvt_f32_i32_e32 v194, v194                               // 000000004820: 7F840BC2
	v_cvt_f32_i32_e32 v195, v195                               // 000000004824: 7F860BC3
	v_mul_f32_e32 v192, v58, v192                              // 000000004828: 0B81813A
	v_mul_f32_e32 v193, v58, v193                              // 00000000482C: 0B83833A
	v_mul_f32_e32 v194, v58, v194                              // 000000004830: 0B85853A
	v_mul_f32_e32 v195, v58, v195                              // 000000004834: 0B87873A
	v_rcp_f32_e32 v58, v62                                     // 000000004838: 7E74453E
	s_waitcnt lgkmcnt(0)                                       // 00000000483C: BF8CC07F
	s_barrier                                                  // 000000004840: BF8A0000
	ds_read_b64 v[128:129], v12 offset:25088                   // 000000004844: D8EC6200 8000000C
	ds_read_b64 v[130:131], v12 offset:25216                   // 00000000484C: D8EC6280 8200000C
	ds_read_b64 v[132:133], v12 offset:26112                   // 000000004854: D8EC6600 8400000C
	ds_read_b64 v[134:135], v12 offset:26240                   // 00000000485C: D8EC6680 8600000C
	v_add_f32_e32 v224, v224, v192                             // 000000004864: 03C181E0
	v_add_f32_e32 v225, v225, v193                             // 000000004868: 03C383E1
	v_add_f32_e32 v226, v226, v194                             // 00000000486C: 03C585E2
	v_add_f32_e32 v227, v227, v195                             // 000000004870: 03C787E3
	s_waitcnt lgkmcnt(3)                                       // 000000004874: BF8CC37F
	v_mov_b32_dpp v136, v128 row_shl:8 row_mask:0xf bank_mask:0xf bound_ctrl:1// 000000004878: 7F1002FA FF090880
	v_and_b32_e32 v128, v128, v9                               // 000000004880: 27001380
	v_mov_b32_dpp v137, v129 row_shl:8 row_mask:0xf bank_mask:0xf bound_ctrl:1// 000000004884: 7F1202FA FF090881
	v_and_b32_e32 v129, v129, v9                               // 00000000488C: 27021381
	s_waitcnt lgkmcnt(2)                                       // 000000004890: BF8CC27F
	v_mov_b32_dpp v138, v130 row_shl:8 row_mask:0xf bank_mask:0xf bound_ctrl:1// 000000004894: 7F1402FA FF090882
	v_and_b32_e32 v130, v130, v9                               // 00000000489C: 27041382
	v_mov_b32_dpp v139, v131 row_shl:8 row_mask:0xf bank_mask:0xf bound_ctrl:1// 0000000048A0: 7F1602FA FF090883
	v_and_b32_e32 v131, v131, v9                               // 0000000048A8: 27061383
	s_waitcnt lgkmcnt(1)                                       // 0000000048AC: BF8CC17F
	v_mov_b32_dpp v140, v132 row_shl:8 row_mask:0xf bank_mask:0xf bound_ctrl:1// 0000000048B0: 7F1802FA FF090884
	v_and_b32_e32 v132, v132, v9                               // 0000000048B8: 27081384
	v_mov_b32_dpp v141, v133 row_shl:8 row_mask:0xf bank_mask:0xf bound_ctrl:1// 0000000048BC: 7F1A02FA FF090885
	v_and_b32_e32 v133, v133, v9                               // 0000000048C4: 270A1385
	s_waitcnt lgkmcnt(0)                                       // 0000000048C8: BF8CC07F
	v_mov_b32_dpp v142, v134 row_shl:8 row_mask:0xf bank_mask:0xf bound_ctrl:1// 0000000048CC: 7F1C02FA FF090886
	v_and_b32_e32 v134, v134, v9                               // 0000000048D4: 270C1386
	v_mov_b32_dpp v143, v135 row_shl:8 row_mask:0xf bank_mask:0xf bound_ctrl:1// 0000000048D8: 7F1E02FA FF090887
	v_and_b32_e32 v135, v135, v9                               // 0000000048E0: 270E1387
	s_waitcnt vmcnt(15)                                        // 0000000048E4: BF8C0F7F
	v_mfma_i32_16x16x32_i8 v[192:195], a[96:97], v[128:129], 0 // 0000000048E8: D3D700C0 0A030160
	buffer_load_dwordx4 a[80:83], v33, s[20:23], 0 offen offset:1024// 0000000048F0: E05C1400 80855021
	v_mfma_i32_16x16x32_i8 v[192:195], a[98:99], v[130:131], v[192:195]// 0000000048F8: D3D700C0 0F030562
	v_mfma_i32_16x16x32_i8 v[192:195], a[100:101], v[132:133], v[192:195]// 000000004900: D3D700C0 0F030964
	v_mfma_i32_16x16x32_i8 v[192:195], a[102:103], v[134:135], v[192:195]// 000000004908: D3D700C0 0F030D66
	v_mfma_i32_16x16x32_i8 v[192:195], a[104:105], v[136:137], v[192:195]// 000000004910: D3D700C0 0F031168
	buffer_load_dwordx4 a[84:87], v34, s[20:23], 0 offen offset:1024// 000000004918: E05C1400 80855422
	v_mfma_i32_16x16x32_i8 v[192:195], a[106:107], v[138:139], v[192:195]// 000000004920: D3D700C0 0F03156A
	v_mfma_i32_16x16x32_i8 v[192:195], a[108:109], v[140:141], v[192:195]// 000000004928: D3D700C0 0F03196C
	v_mfma_i32_16x16x32_i8 v[192:195], a[110:111], v[142:143], v[192:195]// 000000004930: D3D700C0 0F031D6E
	v_mfma_i32_16x16x32_i8 v[196:199], a[112:113], v[128:129], 0// 000000004938: D3D700C4 0A030170
	buffer_load_dwordx4 a[88:91], v35, s[20:23], 0 offen offset:1024// 000000004940: E05C1400 80855823
	v_mfma_i32_16x16x32_i8 v[196:199], a[114:115], v[130:131], v[196:199]// 000000004948: D3D700C4 0F130572
	v_mfma_i32_16x16x32_i8 v[196:199], a[116:117], v[132:133], v[196:199]// 000000004950: D3D700C4 0F130974
	v_mfma_i32_16x16x32_i8 v[196:199], a[118:119], v[134:135], v[196:199]// 000000004958: D3D700C4 0F130D76
	v_mfma_i32_16x16x32_i8 v[196:199], a[120:121], v[136:137], v[196:199]// 000000004960: D3D700C4 0F131178
	buffer_load_dwordx4 a[92:95], v36, s[20:23], 0 offen offset:1024// 000000004968: E05C1400 80855C24
	v_mfma_i32_16x16x32_i8 v[196:199], a[122:123], v[138:139], v[196:199]// 000000004970: D3D700C4 0F13157A
	v_mfma_i32_16x16x32_i8 v[196:199], a[124:125], v[140:141], v[196:199]// 000000004978: D3D700C4 0F13197C
	s_lshr_b32 s57, s70, 4                                     // 000000004980: 8F398446
	s_add_u32 s57, 48, s57                                     // 000000004984: 803939B0
	v_mfma_i32_16x16x32_i8 v[196:199], a[126:127], v[142:143], v[196:199]// 000000004988: D3D700C4 0F131D7E
	s_cmp_ge_u32 s57, s73                                      // 000000004990: BF094939
	s_cselect_b32 s56, 0, s56                                  // 000000004994: 85383880
	v_add_u32_e32 v1, s56, v1                                  // 000000004998: 68020238
	s_addk_i32 s70, 0x100                                      // 00000000499C: B7460100
	s_cmp_lt_i32 s70, s71                                      // 0000000049A0: BF044746
	s_cbranch_scc0 label_0603                                  // 0000000049A4: BF84FC19
	s_branch label_0606                                        // 0000000049A8: BF82FC1B

00000000000049ac <label_09EB>:
	s_lshr_b32 s60, s71, 4                                     // 0000000049AC: 8F3C8447
	s_cmp_eq_i32 s60, s73                                      // 0000000049B0: BF00493C
	s_cbranch_scc1 label_0DDC                                  // 0000000049B4: BF8503EE
	s_lshr_b32 s60, s71, 8                                     // 0000000049B8: 8F3C8847
	s_and_b32 s60, s60, 1                                      // 0000000049BC: 863C813C
	s_cmp_eq_i32 s60, 1                                        // 0000000049C0: BF00813C
	s_cbranch_scc1 label_0BE7                                  // 0000000049C4: BF8501F5
	s_waitcnt vmcnt(8) lgkmcnt(0)                              // 0000000049C8: BF8C0078
	s_barrier                                                  // 0000000049CC: BF8A0000
	v_mfma_i32_16x16x32_i8 v[128:131], a[0:1], v[96:97], 0     // 0000000049D0: D3D70080 0A02C100
	v_mfma_i32_16x16x32_i8 v[128:131], a[2:3], v[98:99], v[128:131]// 0000000049D8: D3D70080 0E02C502
	v_mfma_i32_16x16x32_i8 v[128:131], a[4:5], v[100:101], v[128:131]// 0000000049E0: D3D70080 0E02C904
	v_mfma_i32_16x16x32_i8 v[128:131], a[6:7], v[102:103], v[128:131]// 0000000049E8: D3D70080 0E02CD06
	v_mfma_i32_16x16x32_i8 v[132:135], a[8:9], v[96:97], 0     // 0000000049F0: D3D70084 0A02C108
	v_mfma_i32_16x16x32_i8 v[132:135], a[10:11], v[98:99], v[132:135]// 0000000049F8: D3D70084 0E12C50A
	v_mfma_i32_16x16x32_i8 v[132:135], a[12:13], v[100:101], v[132:135]// 000000004A00: D3D70084 0E12C90C
	v_mfma_i32_16x16x32_i8 v[132:135], a[14:15], v[102:103], v[132:135]// 000000004A08: D3D70084 0E12CD0E
	v_mfma_i32_16x16x32_i8 v[136:139], a[16:17], v[96:97], 0   // 000000004A10: D3D70088 0A02C110
	v_mfma_i32_16x16x32_i8 v[136:139], a[18:19], v[98:99], v[136:139]// 000000004A18: D3D70088 0E22C512
	v_mfma_i32_16x16x32_i8 v[136:139], a[20:21], v[100:101], v[136:139]// 000000004A20: D3D70088 0E22C914
	v_mfma_i32_16x16x32_i8 v[136:139], a[22:23], v[102:103], v[136:139]// 000000004A28: D3D70088 0E22CD16
	v_mfma_i32_16x16x32_i8 v[140:143], a[24:25], v[96:97], 0   // 000000004A30: D3D7008C 0A02C118
	v_mfma_i32_16x16x32_i8 v[140:143], a[26:27], v[98:99], v[140:143]// 000000004A38: D3D7008C 0E32C51A
	v_mfma_i32_16x16x32_i8 v[140:143], a[28:29], v[100:101], v[140:143]// 000000004A40: D3D7008C 0E32C91C
	v_mfma_i32_16x16x32_i8 v[140:143], a[30:31], v[102:103], v[140:143]// 000000004A48: D3D7008C 0E32CD1E
	v_mov_b32_dpp v41, v52 row_shr:4 row_mask:0xf bank_mask:0xf// 000000004A50: 7E5202FA FF011434
	v_mov_b32_dpp v42, v52 row_shl:4 row_mask:0xf bank_mask:0xf// 000000004A58: 7E5402FA FF010434
	v_cndmask_b32_e64 v248, v52, v41, s[44:45]                 // 000000004A60: D10000F8 00B25334
	v_cndmask_b32_e64 v249, v42, v52, s[44:45]                 // 000000004A68: D10000F9 00B2692A
	v_mov_b32_dpp v41, v72 row_shr:4 row_mask:0xf bank_mask:0xf// 000000004A70: 7E5202FA FF011448
	v_mov_b32_dpp v42, v72 row_shl:4 row_mask:0xf bank_mask:0xf// 000000004A78: 7E5402FA FF010448
	v_cndmask_b32_e64 v252, v72, v41, s[44:45]                 // 000000004A80: D10000FC 00B25348
	v_cndmask_b32_e64 v253, v42, v72, s[44:45]                 // 000000004A88: D10000FD 00B2912A
	v_or_b32_dpp v128, v136, v128 row_shr:8 row_mask:0xf bank_mask:0xf bound_ctrl:1// 000000004A90: 290100FA FF091888
	v_or_b32_dpp v129, v137, v129 row_shr:8 row_mask:0xf bank_mask:0xf bound_ctrl:1// 000000004A98: 290302FA FF091889
	v_or_b32_dpp v130, v138, v130 row_shr:8 row_mask:0xf bank_mask:0xf bound_ctrl:1// 000000004AA0: 290504FA FF09188A
	v_or_b32_dpp v131, v139, v131 row_shr:8 row_mask:0xf bank_mask:0xf bound_ctrl:1// 000000004AA8: 290706FA FF09188B
	v_or_b32_dpp v132, v140, v132 row_shr:8 row_mask:0xf bank_mask:0xf bound_ctrl:1// 000000004AB0: 290908FA FF09188C
	v_or_b32_dpp v133, v141, v133 row_shr:8 row_mask:0xf bank_mask:0xf bound_ctrl:1// 000000004AB8: 290B0AFA FF09188D
	v_or_b32_dpp v134, v142, v134 row_shr:8 row_mask:0xf bank_mask:0xf bound_ctrl:1// 000000004AC0: 290D0CFA FF09188E
	v_or_b32_dpp v135, v143, v135 row_shr:8 row_mask:0xf bank_mask:0xf bound_ctrl:1// 000000004AC8: 290F0EFA FF09188F
	v_cvt_f32_i32_e32 v128, v128                               // 000000004AD0: 7F000B80
	v_cvt_f32_i32_e32 v129, v129                               // 000000004AD4: 7F020B81
	v_cvt_f32_i32_e32 v130, v130                               // 000000004AD8: 7F040B82
	v_cvt_f32_i32_e32 v131, v131                               // 000000004ADC: 7F060B83
	v_cvt_f32_i32_e32 v132, v132                               // 000000004AE0: 7F080B84
	v_cvt_f32_i32_e32 v133, v133                               // 000000004AE4: 7F0A0B85
	v_cvt_f32_i32_e32 v134, v134                               // 000000004AE8: 7F0C0B86
	v_cvt_f32_i32_e32 v135, v135                               // 000000004AEC: 7F0E0B87
	v_mul_f32_e32 v128, v54, v128                              // 000000004AF0: 0B010136
	v_mul_f32_e32 v129, v54, v129                              // 000000004AF4: 0B030336
	v_mul_f32_e32 v130, v54, v130                              // 000000004AF8: 0B050536
	v_mul_f32_e32 v131, v54, v131                              // 000000004AFC: 0B070736
	v_mul_f32_e32 v132, v54, v132                              // 000000004B00: 0B090936
	v_mul_f32_e32 v133, v54, v133                              // 000000004B04: 0B0B0B36
	v_mul_f32_e32 v134, v54, v134                              // 000000004B08: 0B0D0D36
	v_mul_f32_e32 v135, v54, v135                              // 000000004B0C: 0B0F0F36
	v_mul_f32_dpp v128, v248, v128 quad_perm:[0,0,0,0] row_mask:0xf bank_mask:0xf// 000000004B10: 0B0100FA FF0000F8
	v_mul_f32_dpp v129, v248, v129 quad_perm:[1,1,1,1] row_mask:0xf bank_mask:0xf// 000000004B18: 0B0302FA FF0055F8
	v_mul_f32_dpp v130, v248, v130 quad_perm:[2,2,2,2] row_mask:0xf bank_mask:0xf// 000000004B20: 0B0504FA FF00AAF8
	v_mul_f32_dpp v131, v248, v131 quad_perm:[3,3,3,3] row_mask:0xf bank_mask:0xf// 000000004B28: 0B0706FA FF00FFF8
	v_mul_f32_dpp v132, v249, v132 quad_perm:[0,0,0,0] row_mask:0xf bank_mask:0xf// 000000004B30: 0B0908FA FF0000F9
	v_mul_f32_dpp v133, v249, v133 quad_perm:[1,1,1,1] row_mask:0xf bank_mask:0xf// 000000004B38: 0B0B0AFA FF0055F9
	v_mul_f32_dpp v134, v249, v134 quad_perm:[2,2,2,2] row_mask:0xf bank_mask:0xf// 000000004B40: 0B0D0CFA FF00AAF9
	v_mul_f32_dpp v135, v249, v135 quad_perm:[3,3,3,3] row_mask:0xf bank_mask:0xf// 000000004B48: 0B0F0EFA FF00FFF9
	s_and_b32 s60, s72, 0xff                                   // 000000004B50: 863CFF48 000000FF
	v_mov_b32_e32 v79, s60                                     // 000000004B58: 7E9E023C
	v_lshrrev_b32_e32 v240, 4, v0                              // 000000004B5C: 21E00084
	v_mul_i32_i24_e32 v240, 4, v240                            // 000000004B60: 0DE1E084
	v_and_b32_e32 v41, 15, v0                                  // 000000004B64: 2652008F
	v_lshrrev_b32_e32 v41, 3, v41                              // 000000004B68: 20525283
	v_mul_i32_i24_e32 v41, 0x80, v41                           // 000000004B6C: 0C5252FF 00000080
	v_add_u32_e32 v240, v41, v240                              // 000000004B74: 69E1E129
	s_mul_i32 s60, s7, 16                                      // 000000004B78: 923C9007
	v_add_u32_e32 v240, s60, v240                              // 000000004B7C: 69E1E03C
	v_add_u32_e32 v241, 1, v240                                // 000000004B80: 69E3E081
	v_add_u32_e32 v242, 2, v240                                // 000000004B84: 69E5E082
	v_add_u32_e32 v243, 3, v240                                // 000000004B88: 69E7E083
	v_cmp_lt_u32_e64 s[40:41], v240, v79                       // 000000004B8C: D0C90028 00029FF0
	v_add_u32_e32 v240, 64, v240                               // 000000004B94: 69E1E0C0
	s_nop 0                                                    // 000000004B98: BF800000
	v_cndmask_b32_e64 v128, v69, v128, s[40:41]                // 000000004B9C: D1000080 00A30145
	v_cmp_lt_u32_e64 s[40:41], v241, v79                       // 000000004BA4: D0C90028 00029FF1
	v_add_u32_e32 v241, 64, v241                               // 000000004BAC: 69E3E2C0
	s_nop 0                                                    // 000000004BB0: BF800000
	v_cndmask_b32_e64 v129, v69, v129, s[40:41]                // 000000004BB4: D1000081 00A30345
	v_cmp_lt_u32_e64 s[40:41], v242, v79                       // 000000004BBC: D0C90028 00029FF2
	v_add_u32_e32 v242, 64, v242                               // 000000004BC4: 69E5E4C0
	s_nop 0                                                    // 000000004BC8: BF800000
	v_cndmask_b32_e64 v130, v69, v130, s[40:41]                // 000000004BCC: D1000082 00A30545
	v_cmp_lt_u32_e64 s[40:41], v243, v79                       // 000000004BD4: D0C90028 00029FF3
	v_add_u32_e32 v243, 64, v243                               // 000000004BDC: 69E7E6C0
	s_nop 0                                                    // 000000004BE0: BF800000
	v_cndmask_b32_e64 v131, v69, v131, s[40:41]                // 000000004BE4: D1000083 00A30745
	v_cmp_lt_u32_e64 s[40:41], v240, v79                       // 000000004BEC: D0C90028 00029FF0
	v_add_u32_e32 v240, 64, v240                               // 000000004BF4: 69E1E0C0
	s_nop 0                                                    // 000000004BF8: BF800000
	v_cndmask_b32_e64 v132, v69, v132, s[40:41]                // 000000004BFC: D1000084 00A30945
	v_cmp_lt_u32_e64 s[40:41], v241, v79                       // 000000004C04: D0C90028 00029FF1
	v_add_u32_e32 v241, 64, v241                               // 000000004C0C: 69E3E2C0
	s_nop 0                                                    // 000000004C10: BF800000
	v_cndmask_b32_e64 v133, v69, v133, s[40:41]                // 000000004C14: D1000085 00A30B45
	v_cmp_lt_u32_e64 s[40:41], v242, v79                       // 000000004C1C: D0C90028 00029FF2
	v_add_u32_e32 v242, 64, v242                               // 000000004C24: 69E5E4C0
	s_nop 0                                                    // 000000004C28: BF800000
	v_cndmask_b32_e64 v134, v69, v134, s[40:41]                // 000000004C2C: D1000086 00A30D45
	v_cmp_lt_u32_e64 s[40:41], v243, v79                       // 000000004C34: D0C90028 00029FF3
	v_add_u32_e32 v243, 64, v243                               // 000000004C3C: 69E7E6C0
	s_nop 0                                                    // 000000004C40: BF800000
	v_cndmask_b32_e64 v135, v69, v135, s[40:41]                // 000000004C44: D1000087 00A30F45
	v_mov_b32_e32 v62, v128                                    // 000000004C4C: 7E7C0380
	v_max3_f32 v62, v128, v129, v62                            // 000000004C50: D1D3003E 04FB0380
	v_max3_f32 v62, v130, v131, v62                            // 000000004C58: D1D3003E 04FB0782
	v_max3_f32 v62, v132, v133, v62                            // 000000004C60: D1D3003E 04FB0B84
	v_max3_f32 v62, v134, v135, v62                            // 000000004C68: D1D3003E 04FB0F86
	ds_write_b32 v11, v62 offset:16896                         // 000000004C70: D81A4200 00003E0B
	v_mul_u32_u24_dpp v41, v20, v68 row_newbcast:1 row_mask:0xf bank_mask:0xf// 000000004C78: 105288FA FF015114
	v_mul_u32_u24_dpp v42, v20, v68 row_newbcast:5 row_mask:0xf bank_mask:0xf// 000000004C80: 105488FA FF015514
	v_mul_u32_u24_dpp v43, v20, v68 row_newbcast:9 row_mask:0xf bank_mask:0xf// 000000004C88: 105688FA FF015914
	v_mul_u32_u24_dpp v44, v20, v68 row_newbcast:13 row_mask:0xf bank_mask:0xf// 000000004C90: 105888FA FF015D14
	v_add_u32_e32 v37, v41, v7                                 // 000000004C98: 684A0F29
	v_add_u32_e32 v38, v42, v7                                 // 000000004C9C: 684C0F2A
	v_add_u32_e32 v39, v43, v7                                 // 000000004CA0: 684E0F2B
	v_add_u32_e32 v40, v44, v7                                 // 000000004CA4: 68500F2C
	s_waitcnt lgkmcnt(0)                                       // 000000004CA8: BF8CC07F
	s_barrier                                                  // 000000004CAC: BF8A0000
	ds_read_b32 v80, v10 offset:16896                          // 000000004CB0: D86C4200 5000000A
	ds_read_b32 v81, v10 offset:16960                          // 000000004CB8: D86C4240 5100000A
	ds_read_b32 v82, v10 offset:17024                          // 000000004CC0: D86C4280 5200000A
	ds_read_b32 v83, v10 offset:17088                          // 000000004CC8: D86C42C0 5300000A
	ds_read_b32 v84, v10 offset:17152                          // 000000004CD0: D86C4300 5400000A
	ds_read_b32 v85, v10 offset:17216                          // 000000004CD8: D86C4340 5500000A
	ds_read_b32 v86, v10 offset:17280                          // 000000004CE0: D86C4380 5600000A
	ds_read_b32 v87, v10 offset:17344                          // 000000004CE8: D86C43C0 5700000A
	ds_read_b32 v88, v10 offset:17408                          // 000000004CF0: D86C4400 5800000A
	ds_read_b32 v89, v10 offset:17472                          // 000000004CF8: D86C4440 5900000A
	ds_read_b32 v90, v10 offset:17536                          // 000000004D00: D86C4480 5A00000A
	ds_read_b32 v91, v10 offset:17600                          // 000000004D08: D86C44C0 5B00000A
	ds_read_b32 v92, v10 offset:17664                          // 000000004D10: D86C4500 5C00000A
	ds_read_b32 v93, v10 offset:17728                          // 000000004D18: D86C4540 5D00000A
	ds_read_b32 v94, v10 offset:17792                          // 000000004D20: D86C4580 5E00000A
	ds_read_b32 v95, v10 offset:17856                          // 000000004D28: D86C45C0 5F00000A
	v_mul_f32_e32 v224, v63, v224                              // 000000004D30: 0BC1C13F
	v_mul_f32_e32 v225, v63, v225                              // 000000004D34: 0BC3C33F
	v_mul_f32_e32 v226, v63, v226                              // 000000004D38: 0BC5C53F
	v_mul_f32_e32 v227, v63, v227                              // 000000004D3C: 0BC7C73F
	v_or_b32_dpp v192, v196, v192 row_shr:8 row_mask:0xf bank_mask:0xf bound_ctrl:1// 000000004D40: 298180FA FF0918C4
	v_or_b32_dpp v193, v197, v193 row_shr:8 row_mask:0xf bank_mask:0xf bound_ctrl:1// 000000004D48: 298382FA FF0918C5
	v_or_b32_dpp v194, v198, v194 row_shr:8 row_mask:0xf bank_mask:0xf bound_ctrl:1// 000000004D50: 298584FA FF0918C6
	v_or_b32_dpp v195, v199, v195 row_shr:8 row_mask:0xf bank_mask:0xf bound_ctrl:1// 000000004D58: 298786FA FF0918C7
	s_waitcnt lgkmcnt(0)                                       // 000000004D60: BF8CC07F
	v_max3_f32 v62, v80, v81, v62                              // 000000004D64: D1D3003E 04FAA350
	v_max3_f32 v62, v82, v83, v62                              // 000000004D6C: D1D3003E 04FAA752
	v_max3_f32 v62, v84, v85, v62                              // 000000004D74: D1D3003E 04FAAB54
	v_max3_f32 v62, v86, v87, v62                              // 000000004D7C: D1D3003E 04FAAF56
	v_max3_f32 v62, v88, v89, v62                              // 000000004D84: D1D3003E 04FAB358
	v_max3_f32 v62, v90, v91, v62                              // 000000004D8C: D1D3003E 04FAB75A
	v_max3_f32 v62, v92, v93, v62                              // 000000004D94: D1D3003E 04FABB5C
	v_max3_f32 v62, v94, v95, v62                              // 000000004D9C: D1D3003E 04FABF5E
	v_cmp_eq_u32_e64 s[40:41], v69, v14                        // 000000004DA4: D0CA0028 00021D45
	s_nop 1                                                    // 000000004DAC: BF800001
	v_mov_b32_dpp v41, v62 row_ror:8 row_mask:0xf bank_mask:0xf// 000000004DB0: 7E5202FA FF01283E
	v_max_f32_e32 v62, v62, v41                                // 000000004DB8: 167C533E
	v_max_f32_e32 v18, v62, v14                                // 000000004DBC: 16241D3E
	v_mul_f32_e32 v67, s64, v18                                // 000000004DC0: 0A862440
	v_fma_f32 v128, v128, s64, -v67                            // 000000004DC4: D1CB0080 850C8180
	v_fma_f32 v129, v129, s64, -v67                            // 000000004DCC: D1CB0081 850C8181
	v_fma_f32 v130, v130, s64, -v67                            // 000000004DD4: D1CB0082 850C8182
	v_fma_f32 v131, v131, s64, -v67                            // 000000004DDC: D1CB0083 850C8183
	v_fma_f32 v132, v132, s64, -v67                            // 000000004DE4: D1CB0084 850C8184
	v_fma_f32 v133, v133, s64, -v67                            // 000000004DEC: D1CB0085 850C8185
	v_fma_f32 v134, v134, s64, -v67                            // 000000004DF4: D1CB0086 850C8186
	v_fma_f32 v135, v135, s64, -v67                            // 000000004DFC: D1CB0087 850C8187
	v_exp_f32_e32 v128, v128                                   // 000000004E04: 7F004180
	v_exp_f32_e32 v129, v129                                   // 000000004E08: 7F024181
	v_exp_f32_e32 v130, v130                                   // 000000004E0C: 7F044182
	v_exp_f32_e32 v131, v131                                   // 000000004E10: 7F064183
	v_exp_f32_e32 v132, v132                                   // 000000004E14: 7F084184
	v_exp_f32_e32 v133, v133                                   // 000000004E18: 7F0A4185
	v_exp_f32_e32 v134, v134                                   // 000000004E1C: 7F0C4186
	v_exp_f32_e32 v135, v135                                   // 000000004E20: 7F0E4187
	v_mul_f32_dpp v240, v252, v128 quad_perm:[0,0,0,0] row_mask:0xf bank_mask:0xf// 000000004E24: 0BE100FA FF0000FC
	v_mul_f32_dpp v241, v252, v129 quad_perm:[1,1,1,1] row_mask:0xf bank_mask:0xf// 000000004E2C: 0BE302FA FF0055FC
	v_mul_f32_dpp v242, v252, v130 quad_perm:[2,2,2,2] row_mask:0xf bank_mask:0xf// 000000004E34: 0BE504FA FF00AAFC
	v_mul_f32_dpp v243, v252, v131 quad_perm:[3,3,3,3] row_mask:0xf bank_mask:0xf// 000000004E3C: 0BE706FA FF00FFFC
	v_mul_f32_dpp v244, v253, v132 quad_perm:[0,0,0,0] row_mask:0xf bank_mask:0xf// 000000004E44: 0BE908FA FF0000FD
	v_mul_f32_dpp v245, v253, v133 quad_perm:[1,1,1,1] row_mask:0xf bank_mask:0xf// 000000004E4C: 0BEB0AFA FF0055FD
	v_mul_f32_dpp v246, v253, v134 quad_perm:[2,2,2,2] row_mask:0xf bank_mask:0xf// 000000004E54: 0BED0CFA FF00AAFD
	v_mul_f32_dpp v247, v253, v135 quad_perm:[3,3,3,3] row_mask:0xf bank_mask:0xf// 000000004E5C: 0BEF0EFA FF00FFFD
	v_mov_b32_e32 v62, 0x358637bd                              // 000000004E64: 7E7C02FF 358637BD
	v_max3_f32 v62, |v240|, |v241|, v62                        // 000000004E6C: D1D3033E 04FBE3F0
	v_max3_f32 v62, |v242|, |v243|, v62                        // 000000004E74: D1D3033E 04FBE7F2
	v_max3_f32 v62, |v244|, |v245|, v62                        // 000000004E7C: D1D3033E 04FBEBF4
	v_max3_f32 v62, |v246|, |v247|, v62                        // 000000004E84: D1D3033E 04FBEFF6
	ds_write_b32 v11, v62 offset:20992                         // 000000004E8C: D81A5200 00003E0B
	v_sub_f32_e32 v63, v14, v18                                // 000000004E94: 047E250E
	v_cndmask_b32_e64 v63, v63, 0, s[40:41]                    // 000000004E98: D100003F 00A1013F
	v_mov_b32_e32 v14, v18                                     // 000000004EA0: 7E1C0312
	v_mul_f32_e32 v63, s64, v63                                // 000000004EA4: 0A7E7E40
	v_exp_f32_e32 v63, v63                                     // 000000004EA8: 7E7E413F
	s_waitcnt lgkmcnt(0)                                       // 000000004EAC: BF8CC07F
	s_barrier                                                  // 000000004EB0: BF8A0000
	ds_read_b32 v80, v10 offset:20992                          // 000000004EB4: D86C5200 5000000A
	ds_read_b32 v81, v10 offset:21056                          // 000000004EBC: D86C5240 5100000A
	ds_read_b32 v82, v10 offset:21120                          // 000000004EC4: D86C5280 5200000A
	ds_read_b32 v83, v10 offset:21184                          // 000000004ECC: D86C52C0 5300000A
	ds_read_b32 v84, v10 offset:21248                          // 000000004ED4: D86C5300 5400000A
	ds_read_b32 v85, v10 offset:21312                          // 000000004EDC: D86C5340 5500000A
	ds_read_b32 v86, v10 offset:21376                          // 000000004EE4: D86C5380 5600000A
	ds_read_b32 v87, v10 offset:21440                          // 000000004EEC: D86C53C0 5700000A
	ds_read_b32 v88, v10 offset:21504                          // 000000004EF4: D86C5400 5800000A
	ds_read_b32 v89, v10 offset:21568                          // 000000004EFC: D86C5440 5900000A
	ds_read_b32 v90, v10 offset:21632                          // 000000004F04: D86C5480 5A00000A
	ds_read_b32 v91, v10 offset:21696                          // 000000004F0C: D86C54C0 5B00000A
	ds_read_b32 v92, v10 offset:21760                          // 000000004F14: D86C5500 5C00000A
	ds_read_b32 v93, v10 offset:21824                          // 000000004F1C: D86C5540 5D00000A
	ds_read_b32 v94, v10 offset:21888                          // 000000004F24: D86C5580 5E00000A
	ds_read_b32 v95, v10 offset:21952                          // 000000004F2C: D86C55C0 5F00000A
	v_mul_f32_e32 v47, v63, v47                                // 000000004F34: 0A5E5F3F
	v_mov_b32_e32 v51, v128                                    // 000000004F38: 7E660380
	v_add_f32_e32 v51, v129, v51                               // 000000004F3C: 02666781
	v_add_f32_e32 v51, v130, v51                               // 000000004F40: 02666782
	v_add_f32_e32 v51, v131, v51                               // 000000004F44: 02666783
	v_add_f32_e32 v51, v132, v51                               // 000000004F48: 02666784
	v_add_f32_e32 v51, v133, v51                               // 000000004F4C: 02666785
	v_add_f32_e32 v51, v134, v51                               // 000000004F50: 02666786
	v_add_f32_e32 v51, v135, v51                               // 000000004F54: 02666787
	v_add_f32_e32 v47, v51, v47                                // 000000004F58: 025E5F33
	s_waitcnt lgkmcnt(0)                                       // 000000004F5C: BF8CC07F
	v_max3_f32 v62, |v80|, |v81|, v62                          // 000000004F60: D1D3033E 04FAA350
	v_max3_f32 v62, |v82|, |v83|, v62                          // 000000004F68: D1D3033E 04FAA752
	v_max3_f32 v62, |v84|, |v85|, v62                          // 000000004F70: D1D3033E 04FAAB54
	v_max3_f32 v62, |v86|, |v87|, v62                          // 000000004F78: D1D3033E 04FAAF56
	v_max3_f32 v62, |v88|, |v89|, v62                          // 000000004F80: D1D3033E 04FAB358
	v_max3_f32 v62, |v90|, |v91|, v62                          // 000000004F88: D1D3033E 04FAB75A
	v_max3_f32 v62, |v92|, |v93|, v62                          // 000000004F90: D1D3033E 04FABB5C
	v_max3_f32 v62, |v94|, |v95|, v62                          // 000000004F98: D1D3033E 04FABF5E
	s_nop 2                                                    // 000000004FA0: BF800002
	v_mov_b32_dpp v41, v62 row_ror:8 row_mask:0xf bank_mask:0xf// 000000004FA4: 7E5202FA FF01283E
	v_max_f32_e32 v62, v62, v41                                // 000000004FAC: 167C533E
	v_rcp_f32_e32 v62, v62                                     // 000000004FB0: 7E7C453E
	s_nop 1                                                    // 000000004FB4: BF800001
	v_mul_f32_e32 v62, 0x42fe0000, v62                         // 000000004FB8: 0A7C7CFF 42FE0000
	v_mul_f32_e32 v128, v62, v240                              // 000000004FC0: 0B01E13E
	v_mul_f32_e32 v129, v62, v241                              // 000000004FC4: 0B03E33E
	v_mul_f32_e32 v130, v62, v242                              // 000000004FC8: 0B05E53E
	v_mul_f32_e32 v131, v62, v243                              // 000000004FCC: 0B07E73E
	v_mul_f32_e32 v132, v62, v244                              // 000000004FD0: 0B09E93E
	v_mul_f32_e32 v133, v62, v245                              // 000000004FD4: 0B0BEB3E
	v_mul_f32_e32 v134, v62, v246                              // 000000004FD8: 0B0DED3E
	v_mul_f32_e32 v135, v62, v247                              // 000000004FDC: 0B0FEF3E
	v_cvt_i32_f32_e32 v128, v128                               // 000000004FE0: 7F001180
	v_cvt_i32_f32_e32 v129, v129                               // 000000004FE4: 7F021181
	v_cvt_i32_f32_e32 v130, v130                               // 000000004FE8: 7F041182
	v_cvt_i32_f32_e32 v131, v131                               // 000000004FEC: 7F061183
	v_cvt_i32_f32_e32 v132, v132                               // 000000004FF0: 7F081184
	v_cvt_i32_f32_e32 v133, v133                               // 000000004FF4: 7F0A1185
	v_cvt_i32_f32_e32 v134, v134                               // 000000004FF8: 7F0C1186
	v_cvt_i32_f32_e32 v135, v135                               // 000000004FFC: 7F0E1187
	v_perm_b32 v128, v129, v128, s53                           // 000000005000: D1ED0080 00D70181
	v_perm_b32 v128, v130, v128, s54                           // 000000005008: D1ED0080 00DB0182
	v_perm_b32 v128, v131, v128, s55                           // 000000005010: D1ED0080 00DF0183
	v_perm_b32 v129, v133, v132, s53                           // 000000005018: D1ED0081 00D70985
	v_perm_b32 v129, v134, v129, s54                           // 000000005020: D1ED0081 00DB0386
	v_perm_b32 v129, v135, v129, s55                           // 000000005028: D1ED0081 00DF0387
	ds_write_b32 v13, v128 offset:25088                        // 000000005030: D81A6200 0000800D
	ds_write_b32 v13, v129 offset:26112                        // 000000005038: D81A6600 0000810D
	v_cvt_f32_i32_e32 v192, v192                               // 000000005040: 7F800BC0
	v_cvt_f32_i32_e32 v193, v193                               // 000000005044: 7F820BC1
	v_cvt_f32_i32_e32 v194, v194                               // 000000005048: 7F840BC2
	v_cvt_f32_i32_e32 v195, v195                               // 00000000504C: 7F860BC3
	v_mul_f32_e32 v192, v58, v192                              // 000000005050: 0B81813A
	v_mul_f32_e32 v193, v58, v193                              // 000000005054: 0B83833A
	v_mul_f32_e32 v194, v58, v194                              // 000000005058: 0B85853A
	v_mul_f32_e32 v195, v58, v195                              // 00000000505C: 0B87873A
	v_rcp_f32_e32 v58, v62                                     // 000000005060: 7E74453E
	s_waitcnt lgkmcnt(0)                                       // 000000005064: BF8CC07F
	s_barrier                                                  // 000000005068: BF8A0000
	ds_read_b64 v[128:129], v12 offset:25088                   // 00000000506C: D8EC6200 8000000C
	ds_read_b64 v[130:131], v12 offset:25216                   // 000000005074: D8EC6280 8200000C
	ds_read_b64 v[132:133], v12 offset:26112                   // 00000000507C: D8EC6600 8400000C
	ds_read_b64 v[134:135], v12 offset:26240                   // 000000005084: D8EC6680 8600000C
	v_add_f32_e32 v224, v224, v192                             // 00000000508C: 03C181E0
	v_add_f32_e32 v225, v225, v193                             // 000000005090: 03C383E1
	v_add_f32_e32 v226, v226, v194                             // 000000005094: 03C585E2
	v_add_f32_e32 v227, v227, v195                             // 000000005098: 03C787E3
	s_waitcnt lgkmcnt(3)                                       // 00000000509C: BF8CC37F
	v_mov_b32_dpp v136, v128 row_shl:8 row_mask:0xf bank_mask:0xf bound_ctrl:1// 0000000050A0: 7F1002FA FF090880
	v_and_b32_e32 v128, v128, v9                               // 0000000050A8: 27001380
	v_mov_b32_dpp v137, v129 row_shl:8 row_mask:0xf bank_mask:0xf bound_ctrl:1// 0000000050AC: 7F1202FA FF090881
	v_and_b32_e32 v129, v129, v9                               // 0000000050B4: 27021381
	s_waitcnt lgkmcnt(2)                                       // 0000000050B8: BF8CC27F
	v_mov_b32_dpp v138, v130 row_shl:8 row_mask:0xf bank_mask:0xf bound_ctrl:1// 0000000050BC: 7F1402FA FF090882
	v_and_b32_e32 v130, v130, v9                               // 0000000050C4: 27041382
	v_mov_b32_dpp v139, v131 row_shl:8 row_mask:0xf bank_mask:0xf bound_ctrl:1// 0000000050C8: 7F1602FA FF090883
	v_and_b32_e32 v131, v131, v9                               // 0000000050D0: 27061383
	s_waitcnt lgkmcnt(1)                                       // 0000000050D4: BF8CC17F
	v_mov_b32_dpp v140, v132 row_shl:8 row_mask:0xf bank_mask:0xf bound_ctrl:1// 0000000050D8: 7F1802FA FF090884
	v_and_b32_e32 v132, v132, v9                               // 0000000050E0: 27081384
	v_mov_b32_dpp v141, v133 row_shl:8 row_mask:0xf bank_mask:0xf bound_ctrl:1// 0000000050E4: 7F1A02FA FF090885
	v_and_b32_e32 v133, v133, v9                               // 0000000050EC: 270A1385
	s_waitcnt lgkmcnt(0)                                       // 0000000050F0: BF8CC07F
	v_mov_b32_dpp v142, v134 row_shl:8 row_mask:0xf bank_mask:0xf bound_ctrl:1// 0000000050F4: 7F1C02FA FF090886
	v_and_b32_e32 v134, v134, v9                               // 0000000050FC: 270C1386
	v_mov_b32_dpp v143, v135 row_shl:8 row_mask:0xf bank_mask:0xf bound_ctrl:1// 000000005100: 7F1E02FA FF090887
	v_and_b32_e32 v135, v135, v9                               // 000000005108: 270E1387
	s_waitcnt vmcnt(0)                                         // 00000000510C: BF8C0F70
	s_barrier                                                  // 000000005110: BF8A0000
	v_mfma_i32_16x16x32_i8 v[192:195], a[64:65], v[128:129], 0 // 000000005114: D3D700C0 0A030140
	v_mfma_i32_16x16x32_i8 v[192:195], a[66:67], v[130:131], v[192:195]// 00000000511C: D3D700C0 0F030542
	v_mfma_i32_16x16x32_i8 v[192:195], a[68:69], v[132:133], v[192:195]// 000000005124: D3D700C0 0F030944
	v_mfma_i32_16x16x32_i8 v[192:195], a[70:71], v[134:135], v[192:195]// 00000000512C: D3D700C0 0F030D46
	v_mfma_i32_16x16x32_i8 v[192:195], a[72:73], v[136:137], v[192:195]// 000000005134: D3D700C0 0F031148
	v_mfma_i32_16x16x32_i8 v[192:195], a[74:75], v[138:139], v[192:195]// 00000000513C: D3D700C0 0F03154A
	v_mfma_i32_16x16x32_i8 v[192:195], a[76:77], v[140:141], v[192:195]// 000000005144: D3D700C0 0F03194C
	v_mfma_i32_16x16x32_i8 v[192:195], a[78:79], v[142:143], v[192:195]// 00000000514C: D3D700C0 0F031D4E
	v_mfma_i32_16x16x32_i8 v[196:199], a[80:81], v[128:129], 0 // 000000005154: D3D700C4 0A030150
	v_mfma_i32_16x16x32_i8 v[196:199], a[82:83], v[130:131], v[196:199]// 00000000515C: D3D700C4 0F130552
	v_mfma_i32_16x16x32_i8 v[196:199], a[84:85], v[132:133], v[196:199]// 000000005164: D3D700C4 0F130954
	v_mfma_i32_16x16x32_i8 v[196:199], a[86:87], v[134:135], v[196:199]// 00000000516C: D3D700C4 0F130D56
	v_mfma_i32_16x16x32_i8 v[196:199], a[88:89], v[136:137], v[196:199]// 000000005174: D3D700C4 0F131158
	v_mfma_i32_16x16x32_i8 v[196:199], a[90:91], v[138:139], v[196:199]// 00000000517C: D3D700C4 0F13155A
	v_mfma_i32_16x16x32_i8 v[196:199], a[92:93], v[140:141], v[196:199]// 000000005184: D3D700C4 0F13195C
	v_mfma_i32_16x16x32_i8 v[196:199], a[94:95], v[142:143], v[196:199]// 00000000518C: D3D700C4 0F131D5E
	s_nop 4                                                    // 000000005194: BF800004
	s_branch label_0DDC                                        // 000000005198: BF8201F5

000000000000519c <label_0BE7>:
	s_waitcnt vmcnt(8) lgkmcnt(0)                              // 00000000519C: BF8C0078
	s_barrier                                                  // 0000000051A0: BF8A0000
	v_mfma_i32_16x16x32_i8 v[128:131], a[32:33], v[96:97], 0   // 0000000051A4: D3D70080 0A02C120
	v_mfma_i32_16x16x32_i8 v[128:131], a[34:35], v[98:99], v[128:131]// 0000000051AC: D3D70080 0E02C522
	v_mfma_i32_16x16x32_i8 v[128:131], a[36:37], v[100:101], v[128:131]// 0000000051B4: D3D70080 0E02C924
	v_mfma_i32_16x16x32_i8 v[128:131], a[38:39], v[102:103], v[128:131]// 0000000051BC: D3D70080 0E02CD26
	v_mfma_i32_16x16x32_i8 v[132:135], a[40:41], v[96:97], 0   // 0000000051C4: D3D70084 0A02C128
	v_mfma_i32_16x16x32_i8 v[132:135], a[42:43], v[98:99], v[132:135]// 0000000051CC: D3D70084 0E12C52A
	v_mfma_i32_16x16x32_i8 v[132:135], a[44:45], v[100:101], v[132:135]// 0000000051D4: D3D70084 0E12C92C
	v_mfma_i32_16x16x32_i8 v[132:135], a[46:47], v[102:103], v[132:135]// 0000000051DC: D3D70084 0E12CD2E
	v_mfma_i32_16x16x32_i8 v[136:139], a[48:49], v[96:97], 0   // 0000000051E4: D3D70088 0A02C130
	v_mfma_i32_16x16x32_i8 v[136:139], a[50:51], v[98:99], v[136:139]// 0000000051EC: D3D70088 0E22C532
	v_mfma_i32_16x16x32_i8 v[136:139], a[52:53], v[100:101], v[136:139]// 0000000051F4: D3D70088 0E22C934
	v_mfma_i32_16x16x32_i8 v[136:139], a[54:55], v[102:103], v[136:139]// 0000000051FC: D3D70088 0E22CD36
	v_mfma_i32_16x16x32_i8 v[140:143], a[56:57], v[96:97], 0   // 000000005204: D3D7008C 0A02C138
	v_mfma_i32_16x16x32_i8 v[140:143], a[58:59], v[98:99], v[140:143]// 00000000520C: D3D7008C 0E32C53A
	v_mfma_i32_16x16x32_i8 v[140:143], a[60:61], v[100:101], v[140:143]// 000000005214: D3D7008C 0E32C93C
	v_mfma_i32_16x16x32_i8 v[140:143], a[62:63], v[102:103], v[140:143]// 00000000521C: D3D7008C 0E32CD3E
	v_mov_b32_dpp v41, v53 row_shr:4 row_mask:0xf bank_mask:0xf// 000000005224: 7E5202FA FF011435
	v_mov_b32_dpp v42, v53 row_shl:4 row_mask:0xf bank_mask:0xf// 00000000522C: 7E5402FA FF010435
	v_cndmask_b32_e64 v248, v53, v41, s[44:45]                 // 000000005234: D10000F8 00B25335
	v_cndmask_b32_e64 v249, v42, v53, s[44:45]                 // 00000000523C: D10000F9 00B26B2A
	v_mov_b32_dpp v41, v73 row_shr:4 row_mask:0xf bank_mask:0xf// 000000005244: 7E5202FA FF011449
	v_mov_b32_dpp v42, v73 row_shl:4 row_mask:0xf bank_mask:0xf// 00000000524C: 7E5402FA FF010449
	v_cndmask_b32_e64 v252, v73, v41, s[44:45]                 // 000000005254: D10000FC 00B25349
	v_cndmask_b32_e64 v253, v42, v73, s[44:45]                 // 00000000525C: D10000FD 00B2932A
	v_or_b32_dpp v128, v136, v128 row_shr:8 row_mask:0xf bank_mask:0xf bound_ctrl:1// 000000005264: 290100FA FF091888
	v_or_b32_dpp v129, v137, v129 row_shr:8 row_mask:0xf bank_mask:0xf bound_ctrl:1// 00000000526C: 290302FA FF091889
	v_or_b32_dpp v130, v138, v130 row_shr:8 row_mask:0xf bank_mask:0xf bound_ctrl:1// 000000005274: 290504FA FF09188A
	v_or_b32_dpp v131, v139, v131 row_shr:8 row_mask:0xf bank_mask:0xf bound_ctrl:1// 00000000527C: 290706FA FF09188B
	v_or_b32_dpp v132, v140, v132 row_shr:8 row_mask:0xf bank_mask:0xf bound_ctrl:1// 000000005284: 290908FA FF09188C
	v_or_b32_dpp v133, v141, v133 row_shr:8 row_mask:0xf bank_mask:0xf bound_ctrl:1// 00000000528C: 290B0AFA FF09188D
	v_or_b32_dpp v134, v142, v134 row_shr:8 row_mask:0xf bank_mask:0xf bound_ctrl:1// 000000005294: 290D0CFA FF09188E
	v_or_b32_dpp v135, v143, v135 row_shr:8 row_mask:0xf bank_mask:0xf bound_ctrl:1// 00000000529C: 290F0EFA FF09188F
	v_cvt_f32_i32_e32 v128, v128                               // 0000000052A4: 7F000B80
	v_cvt_f32_i32_e32 v129, v129                               // 0000000052A8: 7F020B81
	v_cvt_f32_i32_e32 v130, v130                               // 0000000052AC: 7F040B82
	v_cvt_f32_i32_e32 v131, v131                               // 0000000052B0: 7F060B83
	v_cvt_f32_i32_e32 v132, v132                               // 0000000052B4: 7F080B84
	v_cvt_f32_i32_e32 v133, v133                               // 0000000052B8: 7F0A0B85
	v_cvt_f32_i32_e32 v134, v134                               // 0000000052BC: 7F0C0B86
	v_cvt_f32_i32_e32 v135, v135                               // 0000000052C0: 7F0E0B87
	v_mul_f32_e32 v128, v54, v128                              // 0000000052C4: 0B010136
	v_mul_f32_e32 v129, v54, v129                              // 0000000052C8: 0B030336
	v_mul_f32_e32 v130, v54, v130                              // 0000000052CC: 0B050536
	v_mul_f32_e32 v131, v54, v131                              // 0000000052D0: 0B070736
	v_mul_f32_e32 v132, v54, v132                              // 0000000052D4: 0B090936
	v_mul_f32_e32 v133, v54, v133                              // 0000000052D8: 0B0B0B36
	v_mul_f32_e32 v134, v54, v134                              // 0000000052DC: 0B0D0D36
	v_mul_f32_e32 v135, v54, v135                              // 0000000052E0: 0B0F0F36
	v_mul_f32_dpp v128, v248, v128 quad_perm:[0,0,0,0] row_mask:0xf bank_mask:0xf// 0000000052E4: 0B0100FA FF0000F8
	v_mul_f32_dpp v129, v248, v129 quad_perm:[1,1,1,1] row_mask:0xf bank_mask:0xf// 0000000052EC: 0B0302FA FF0055F8
	v_mul_f32_dpp v130, v248, v130 quad_perm:[2,2,2,2] row_mask:0xf bank_mask:0xf// 0000000052F4: 0B0504FA FF00AAF8
	v_mul_f32_dpp v131, v248, v131 quad_perm:[3,3,3,3] row_mask:0xf bank_mask:0xf// 0000000052FC: 0B0706FA FF00FFF8
	v_mul_f32_dpp v132, v249, v132 quad_perm:[0,0,0,0] row_mask:0xf bank_mask:0xf// 000000005304: 0B0908FA FF0000F9
	v_mul_f32_dpp v133, v249, v133 quad_perm:[1,1,1,1] row_mask:0xf bank_mask:0xf// 00000000530C: 0B0B0AFA FF0055F9
	v_mul_f32_dpp v134, v249, v134 quad_perm:[2,2,2,2] row_mask:0xf bank_mask:0xf// 000000005314: 0B0D0CFA FF00AAF9
	v_mul_f32_dpp v135, v249, v135 quad_perm:[3,3,3,3] row_mask:0xf bank_mask:0xf// 00000000531C: 0B0F0EFA FF00FFF9
	s_and_b32 s60, s72, 0xff                                   // 000000005324: 863CFF48 000000FF
	v_mov_b32_e32 v79, s60                                     // 00000000532C: 7E9E023C
	v_lshrrev_b32_e32 v240, 4, v0                              // 000000005330: 21E00084
	v_mul_i32_i24_e32 v240, 4, v240                            // 000000005334: 0DE1E084
	v_and_b32_e32 v41, 15, v0                                  // 000000005338: 2652008F
	v_lshrrev_b32_e32 v41, 3, v41                              // 00000000533C: 20525283
	v_mul_i32_i24_e32 v41, 0x80, v41                           // 000000005340: 0C5252FF 00000080
	v_add_u32_e32 v240, v41, v240                              // 000000005348: 69E1E129
	s_mul_i32 s60, s7, 16                                      // 00000000534C: 923C9007
	v_add_u32_e32 v240, s60, v240                              // 000000005350: 69E1E03C
	v_add_u32_e32 v241, 1, v240                                // 000000005354: 69E3E081
	v_add_u32_e32 v242, 2, v240                                // 000000005358: 69E5E082
	v_add_u32_e32 v243, 3, v240                                // 00000000535C: 69E7E083
	v_cmp_lt_u32_e64 s[40:41], v240, v79                       // 000000005360: D0C90028 00029FF0
	v_add_u32_e32 v240, 64, v240                               // 000000005368: 69E1E0C0
	s_nop 0                                                    // 00000000536C: BF800000
	v_cndmask_b32_e64 v128, v69, v128, s[40:41]                // 000000005370: D1000080 00A30145
	v_cmp_lt_u32_e64 s[40:41], v241, v79                       // 000000005378: D0C90028 00029FF1
	v_add_u32_e32 v241, 64, v241                               // 000000005380: 69E3E2C0
	s_nop 0                                                    // 000000005384: BF800000
	v_cndmask_b32_e64 v129, v69, v129, s[40:41]                // 000000005388: D1000081 00A30345
	v_cmp_lt_u32_e64 s[40:41], v242, v79                       // 000000005390: D0C90028 00029FF2
	v_add_u32_e32 v242, 64, v242                               // 000000005398: 69E5E4C0
	s_nop 0                                                    // 00000000539C: BF800000
	v_cndmask_b32_e64 v130, v69, v130, s[40:41]                // 0000000053A0: D1000082 00A30545
	v_cmp_lt_u32_e64 s[40:41], v243, v79                       // 0000000053A8: D0C90028 00029FF3
	v_add_u32_e32 v243, 64, v243                               // 0000000053B0: 69E7E6C0
	s_nop 0                                                    // 0000000053B4: BF800000
	v_cndmask_b32_e64 v131, v69, v131, s[40:41]                // 0000000053B8: D1000083 00A30745
	v_cmp_lt_u32_e64 s[40:41], v240, v79                       // 0000000053C0: D0C90028 00029FF0
	v_add_u32_e32 v240, 64, v240                               // 0000000053C8: 69E1E0C0
	s_nop 0                                                    // 0000000053CC: BF800000
	v_cndmask_b32_e64 v132, v69, v132, s[40:41]                // 0000000053D0: D1000084 00A30945
	v_cmp_lt_u32_e64 s[40:41], v241, v79                       // 0000000053D8: D0C90028 00029FF1
	v_add_u32_e32 v241, 64, v241                               // 0000000053E0: 69E3E2C0
	s_nop 0                                                    // 0000000053E4: BF800000
	v_cndmask_b32_e64 v133, v69, v133, s[40:41]                // 0000000053E8: D1000085 00A30B45
	v_cmp_lt_u32_e64 s[40:41], v242, v79                       // 0000000053F0: D0C90028 00029FF2
	v_add_u32_e32 v242, 64, v242                               // 0000000053F8: 69E5E4C0
	s_nop 0                                                    // 0000000053FC: BF800000
	v_cndmask_b32_e64 v134, v69, v134, s[40:41]                // 000000005400: D1000086 00A30D45
	v_cmp_lt_u32_e64 s[40:41], v243, v79                       // 000000005408: D0C90028 00029FF3
	v_add_u32_e32 v243, 64, v243                               // 000000005410: 69E7E6C0
	s_nop 0                                                    // 000000005414: BF800000
	v_cndmask_b32_e64 v135, v69, v135, s[40:41]                // 000000005418: D1000087 00A30F45
	v_mov_b32_e32 v62, v128                                    // 000000005420: 7E7C0380
	v_max3_f32 v62, v128, v129, v62                            // 000000005424: D1D3003E 04FB0380
	v_max3_f32 v62, v130, v131, v62                            // 00000000542C: D1D3003E 04FB0782
	v_max3_f32 v62, v132, v133, v62                            // 000000005434: D1D3003E 04FB0B84
	v_max3_f32 v62, v134, v135, v62                            // 00000000543C: D1D3003E 04FB0F86
	ds_write_b32 v11, v62 offset:16896                         // 000000005444: D81A4200 00003E0B
	v_mul_u32_u24_dpp v41, v19, v68 row_newbcast:1 row_mask:0xf bank_mask:0xf// 00000000544C: 105288FA FF015113
	v_mul_u32_u24_dpp v42, v19, v68 row_newbcast:5 row_mask:0xf bank_mask:0xf// 000000005454: 105488FA FF015513
	v_mul_u32_u24_dpp v43, v19, v68 row_newbcast:9 row_mask:0xf bank_mask:0xf// 00000000545C: 105688FA FF015913
	v_mul_u32_u24_dpp v44, v19, v68 row_newbcast:13 row_mask:0xf bank_mask:0xf// 000000005464: 105888FA FF015D13
	v_add_u32_e32 v33, v41, v7                                 // 00000000546C: 68420F29
	v_add_u32_e32 v34, v42, v7                                 // 000000005470: 68440F2A
	v_add_u32_e32 v35, v43, v7                                 // 000000005474: 68460F2B
	v_add_u32_e32 v36, v44, v7                                 // 000000005478: 68480F2C
	s_waitcnt lgkmcnt(0)                                       // 00000000547C: BF8CC07F
	s_barrier                                                  // 000000005480: BF8A0000
	ds_read_b32 v80, v10 offset:16896                          // 000000005484: D86C4200 5000000A
	ds_read_b32 v81, v10 offset:16960                          // 00000000548C: D86C4240 5100000A
	ds_read_b32 v82, v10 offset:17024                          // 000000005494: D86C4280 5200000A
	ds_read_b32 v83, v10 offset:17088                          // 00000000549C: D86C42C0 5300000A
	ds_read_b32 v84, v10 offset:17152                          // 0000000054A4: D86C4300 5400000A
	ds_read_b32 v85, v10 offset:17216                          // 0000000054AC: D86C4340 5500000A
	ds_read_b32 v86, v10 offset:17280                          // 0000000054B4: D86C4380 5600000A
	ds_read_b32 v87, v10 offset:17344                          // 0000000054BC: D86C43C0 5700000A
	ds_read_b32 v88, v10 offset:17408                          // 0000000054C4: D86C4400 5800000A
	ds_read_b32 v89, v10 offset:17472                          // 0000000054CC: D86C4440 5900000A
	ds_read_b32 v90, v10 offset:17536                          // 0000000054D4: D86C4480 5A00000A
	ds_read_b32 v91, v10 offset:17600                          // 0000000054DC: D86C44C0 5B00000A
	ds_read_b32 v92, v10 offset:17664                          // 0000000054E4: D86C4500 5C00000A
	ds_read_b32 v93, v10 offset:17728                          // 0000000054EC: D86C4540 5D00000A
	ds_read_b32 v94, v10 offset:17792                          // 0000000054F4: D86C4580 5E00000A
	ds_read_b32 v95, v10 offset:17856                          // 0000000054FC: D86C45C0 5F00000A
	v_mul_f32_e32 v224, v63, v224                              // 000000005504: 0BC1C13F
	v_mul_f32_e32 v225, v63, v225                              // 000000005508: 0BC3C33F
	v_mul_f32_e32 v226, v63, v226                              // 00000000550C: 0BC5C53F
	v_mul_f32_e32 v227, v63, v227                              // 000000005510: 0BC7C73F
	v_or_b32_dpp v192, v196, v192 row_shr:8 row_mask:0xf bank_mask:0xf bound_ctrl:1// 000000005514: 298180FA FF0918C4
	v_or_b32_dpp v193, v197, v193 row_shr:8 row_mask:0xf bank_mask:0xf bound_ctrl:1// 00000000551C: 298382FA FF0918C5
	v_or_b32_dpp v194, v198, v194 row_shr:8 row_mask:0xf bank_mask:0xf bound_ctrl:1// 000000005524: 298584FA FF0918C6
	v_or_b32_dpp v195, v199, v195 row_shr:8 row_mask:0xf bank_mask:0xf bound_ctrl:1// 00000000552C: 298786FA FF0918C7
	s_waitcnt lgkmcnt(0)                                       // 000000005534: BF8CC07F
	v_max3_f32 v62, v80, v81, v62                              // 000000005538: D1D3003E 04FAA350
	v_max3_f32 v62, v82, v83, v62                              // 000000005540: D1D3003E 04FAA752
	v_max3_f32 v62, v84, v85, v62                              // 000000005548: D1D3003E 04FAAB54
	v_max3_f32 v62, v86, v87, v62                              // 000000005550: D1D3003E 04FAAF56
	v_max3_f32 v62, v88, v89, v62                              // 000000005558: D1D3003E 04FAB358
	v_max3_f32 v62, v90, v91, v62                              // 000000005560: D1D3003E 04FAB75A
	v_max3_f32 v62, v92, v93, v62                              // 000000005568: D1D3003E 04FABB5C
	v_max3_f32 v62, v94, v95, v62                              // 000000005570: D1D3003E 04FABF5E
	v_cmp_eq_u32_e64 s[40:41], v69, v14                        // 000000005578: D0CA0028 00021D45
	s_nop 1                                                    // 000000005580: BF800001
	v_mov_b32_dpp v41, v62 row_ror:8 row_mask:0xf bank_mask:0xf// 000000005584: 7E5202FA FF01283E
	v_max_f32_e32 v62, v62, v41                                // 00000000558C: 167C533E
	v_max_f32_e32 v18, v62, v14                                // 000000005590: 16241D3E
	v_mul_f32_e32 v67, s64, v18                                // 000000005594: 0A862440
	v_fma_f32 v128, v128, s64, -v67                            // 000000005598: D1CB0080 850C8180
	v_fma_f32 v129, v129, s64, -v67                            // 0000000055A0: D1CB0081 850C8181
	v_fma_f32 v130, v130, s64, -v67                            // 0000000055A8: D1CB0082 850C8182
	v_fma_f32 v131, v131, s64, -v67                            // 0000000055B0: D1CB0083 850C8183
	v_fma_f32 v132, v132, s64, -v67                            // 0000000055B8: D1CB0084 850C8184
	v_fma_f32 v133, v133, s64, -v67                            // 0000000055C0: D1CB0085 850C8185
	v_fma_f32 v134, v134, s64, -v67                            // 0000000055C8: D1CB0086 850C8186
	v_fma_f32 v135, v135, s64, -v67                            // 0000000055D0: D1CB0087 850C8187
	v_exp_f32_e32 v128, v128                                   // 0000000055D8: 7F004180
	v_exp_f32_e32 v129, v129                                   // 0000000055DC: 7F024181
	v_exp_f32_e32 v130, v130                                   // 0000000055E0: 7F044182
	v_exp_f32_e32 v131, v131                                   // 0000000055E4: 7F064183
	v_exp_f32_e32 v132, v132                                   // 0000000055E8: 7F084184
	v_exp_f32_e32 v133, v133                                   // 0000000055EC: 7F0A4185
	v_exp_f32_e32 v134, v134                                   // 0000000055F0: 7F0C4186
	v_exp_f32_e32 v135, v135                                   // 0000000055F4: 7F0E4187
	v_mul_f32_dpp v240, v252, v128 quad_perm:[0,0,0,0] row_mask:0xf bank_mask:0xf// 0000000055F8: 0BE100FA FF0000FC
	v_mul_f32_dpp v241, v252, v129 quad_perm:[1,1,1,1] row_mask:0xf bank_mask:0xf// 000000005600: 0BE302FA FF0055FC
	v_mul_f32_dpp v242, v252, v130 quad_perm:[2,2,2,2] row_mask:0xf bank_mask:0xf// 000000005608: 0BE504FA FF00AAFC
	v_mul_f32_dpp v243, v252, v131 quad_perm:[3,3,3,3] row_mask:0xf bank_mask:0xf// 000000005610: 0BE706FA FF00FFFC
	v_mul_f32_dpp v244, v253, v132 quad_perm:[0,0,0,0] row_mask:0xf bank_mask:0xf// 000000005618: 0BE908FA FF0000FD
	v_mul_f32_dpp v245, v253, v133 quad_perm:[1,1,1,1] row_mask:0xf bank_mask:0xf// 000000005620: 0BEB0AFA FF0055FD
	v_mul_f32_dpp v246, v253, v134 quad_perm:[2,2,2,2] row_mask:0xf bank_mask:0xf// 000000005628: 0BED0CFA FF00AAFD
	v_mul_f32_dpp v247, v253, v135 quad_perm:[3,3,3,3] row_mask:0xf bank_mask:0xf// 000000005630: 0BEF0EFA FF00FFFD
	v_mov_b32_e32 v62, 0x358637bd                              // 000000005638: 7E7C02FF 358637BD
	v_max3_f32 v62, |v240|, |v241|, v62                        // 000000005640: D1D3033E 04FBE3F0
	v_max3_f32 v62, |v242|, |v243|, v62                        // 000000005648: D1D3033E 04FBE7F2
	v_max3_f32 v62, |v244|, |v245|, v62                        // 000000005650: D1D3033E 04FBEBF4
	v_max3_f32 v62, |v246|, |v247|, v62                        // 000000005658: D1D3033E 04FBEFF6
	ds_write_b32 v11, v62 offset:20992                         // 000000005660: D81A5200 00003E0B
	v_sub_f32_e32 v63, v14, v18                                // 000000005668: 047E250E
	v_cndmask_b32_e64 v63, v63, 0, s[40:41]                    // 00000000566C: D100003F 00A1013F
	v_mov_b32_e32 v14, v18                                     // 000000005674: 7E1C0312
	v_mul_f32_e32 v63, s64, v63                                // 000000005678: 0A7E7E40
	v_exp_f32_e32 v63, v63                                     // 00000000567C: 7E7E413F
	s_waitcnt lgkmcnt(0)                                       // 000000005680: BF8CC07F
	s_barrier                                                  // 000000005684: BF8A0000
	ds_read_b32 v80, v10 offset:20992                          // 000000005688: D86C5200 5000000A
	ds_read_b32 v81, v10 offset:21056                          // 000000005690: D86C5240 5100000A
	ds_read_b32 v82, v10 offset:21120                          // 000000005698: D86C5280 5200000A
	ds_read_b32 v83, v10 offset:21184                          // 0000000056A0: D86C52C0 5300000A
	ds_read_b32 v84, v10 offset:21248                          // 0000000056A8: D86C5300 5400000A
	ds_read_b32 v85, v10 offset:21312                          // 0000000056B0: D86C5340 5500000A
	ds_read_b32 v86, v10 offset:21376                          // 0000000056B8: D86C5380 5600000A
	ds_read_b32 v87, v10 offset:21440                          // 0000000056C0: D86C53C0 5700000A
	ds_read_b32 v88, v10 offset:21504                          // 0000000056C8: D86C5400 5800000A
	ds_read_b32 v89, v10 offset:21568                          // 0000000056D0: D86C5440 5900000A
	ds_read_b32 v90, v10 offset:21632                          // 0000000056D8: D86C5480 5A00000A
	ds_read_b32 v91, v10 offset:21696                          // 0000000056E0: D86C54C0 5B00000A
	ds_read_b32 v92, v10 offset:21760                          // 0000000056E8: D86C5500 5C00000A
	ds_read_b32 v93, v10 offset:21824                          // 0000000056F0: D86C5540 5D00000A
	ds_read_b32 v94, v10 offset:21888                          // 0000000056F8: D86C5580 5E00000A
	ds_read_b32 v95, v10 offset:21952                          // 000000005700: D86C55C0 5F00000A
	v_mul_f32_e32 v47, v63, v47                                // 000000005708: 0A5E5F3F
	v_mov_b32_e32 v51, v128                                    // 00000000570C: 7E660380
	v_add_f32_e32 v51, v129, v51                               // 000000005710: 02666781
	v_add_f32_e32 v51, v130, v51                               // 000000005714: 02666782
	;; [unrolled: 1-line block ×3, first 2 shown]
	v_add_f32_e32 v51, v132, v51                               // 00000000571C: 02666784
	v_add_f32_e32 v51, v133, v51                               // 000000005720: 02666785
	v_add_f32_e32 v51, v134, v51                               // 000000005724: 02666786
	;; [unrolled: 1-line block ×3, first 2 shown]
	v_add_f32_e32 v47, v51, v47                                // 00000000572C: 025E5F33
	s_waitcnt lgkmcnt(0)                                       // 000000005730: BF8CC07F
	v_max3_f32 v62, |v80|, |v81|, v62                          // 000000005734: D1D3033E 04FAA350
	v_max3_f32 v62, |v82|, |v83|, v62                          // 00000000573C: D1D3033E 04FAA752
	v_max3_f32 v62, |v84|, |v85|, v62                          // 000000005744: D1D3033E 04FAAB54
	v_max3_f32 v62, |v86|, |v87|, v62                          // 00000000574C: D1D3033E 04FAAF56
	v_max3_f32 v62, |v88|, |v89|, v62                          // 000000005754: D1D3033E 04FAB358
	v_max3_f32 v62, |v90|, |v91|, v62                          // 00000000575C: D1D3033E 04FAB75A
	v_max3_f32 v62, |v92|, |v93|, v62                          // 000000005764: D1D3033E 04FABB5C
	v_max3_f32 v62, |v94|, |v95|, v62                          // 00000000576C: D1D3033E 04FABF5E
	s_nop 2                                                    // 000000005774: BF800002
	v_mov_b32_dpp v41, v62 row_ror:8 row_mask:0xf bank_mask:0xf// 000000005778: 7E5202FA FF01283E
	v_max_f32_e32 v62, v62, v41                                // 000000005780: 167C533E
	v_rcp_f32_e32 v62, v62                                     // 000000005784: 7E7C453E
	s_nop 1                                                    // 000000005788: BF800001
	v_mul_f32_e32 v62, 0x42fe0000, v62                         // 00000000578C: 0A7C7CFF 42FE0000
	v_mul_f32_e32 v128, v62, v240                              // 000000005794: 0B01E13E
	v_mul_f32_e32 v129, v62, v241                              // 000000005798: 0B03E33E
	v_mul_f32_e32 v130, v62, v242                              // 00000000579C: 0B05E53E
	v_mul_f32_e32 v131, v62, v243                              // 0000000057A0: 0B07E73E
	v_mul_f32_e32 v132, v62, v244                              // 0000000057A4: 0B09E93E
	v_mul_f32_e32 v133, v62, v245                              // 0000000057A8: 0B0BEB3E
	v_mul_f32_e32 v134, v62, v246                              // 0000000057AC: 0B0DED3E
	v_mul_f32_e32 v135, v62, v247                              // 0000000057B0: 0B0FEF3E
	v_cvt_i32_f32_e32 v128, v128                               // 0000000057B4: 7F001180
	v_cvt_i32_f32_e32 v129, v129                               // 0000000057B8: 7F021181
	v_cvt_i32_f32_e32 v130, v130                               // 0000000057BC: 7F041182
	v_cvt_i32_f32_e32 v131, v131                               // 0000000057C0: 7F061183
	v_cvt_i32_f32_e32 v132, v132                               // 0000000057C4: 7F081184
	v_cvt_i32_f32_e32 v133, v133                               // 0000000057C8: 7F0A1185
	v_cvt_i32_f32_e32 v134, v134                               // 0000000057CC: 7F0C1186
	v_cvt_i32_f32_e32 v135, v135                               // 0000000057D0: 7F0E1187
	v_perm_b32 v128, v129, v128, s53                           // 0000000057D4: D1ED0080 00D70181
	v_perm_b32 v128, v130, v128, s54                           // 0000000057DC: D1ED0080 00DB0182
	v_perm_b32 v128, v131, v128, s55                           // 0000000057E4: D1ED0080 00DF0183
	v_perm_b32 v129, v133, v132, s53                           // 0000000057EC: D1ED0081 00D70985
	v_perm_b32 v129, v134, v129, s54                           // 0000000057F4: D1ED0081 00DB0386
	v_perm_b32 v129, v135, v129, s55                           // 0000000057FC: D1ED0081 00DF0387
	ds_write_b32 v13, v128 offset:25088                        // 000000005804: D81A6200 0000800D
	ds_write_b32 v13, v129 offset:26112                        // 00000000580C: D81A6600 0000810D
	v_cvt_f32_i32_e32 v192, v192                               // 000000005814: 7F800BC0
	v_cvt_f32_i32_e32 v193, v193                               // 000000005818: 7F820BC1
	v_cvt_f32_i32_e32 v194, v194                               // 00000000581C: 7F840BC2
	v_cvt_f32_i32_e32 v195, v195                               // 000000005820: 7F860BC3
	v_mul_f32_e32 v192, v58, v192                              // 000000005824: 0B81813A
	v_mul_f32_e32 v193, v58, v193                              // 000000005828: 0B83833A
	v_mul_f32_e32 v194, v58, v194                              // 00000000582C: 0B85853A
	v_mul_f32_e32 v195, v58, v195                              // 000000005830: 0B87873A
	v_rcp_f32_e32 v58, v62                                     // 000000005834: 7E74453E
	s_waitcnt lgkmcnt(0)                                       // 000000005838: BF8CC07F
	s_barrier                                                  // 00000000583C: BF8A0000
	ds_read_b64 v[128:129], v12 offset:25088                   // 000000005840: D8EC6200 8000000C
	ds_read_b64 v[130:131], v12 offset:25216                   // 000000005848: D8EC6280 8200000C
	ds_read_b64 v[132:133], v12 offset:26112                   // 000000005850: D8EC6600 8400000C
	ds_read_b64 v[134:135], v12 offset:26240                   // 000000005858: D8EC6680 8600000C
	v_add_f32_e32 v224, v224, v192                             // 000000005860: 03C181E0
	v_add_f32_e32 v225, v225, v193                             // 000000005864: 03C383E1
	v_add_f32_e32 v226, v226, v194                             // 000000005868: 03C585E2
	v_add_f32_e32 v227, v227, v195                             // 00000000586C: 03C787E3
	s_waitcnt lgkmcnt(3)                                       // 000000005870: BF8CC37F
	v_mov_b32_dpp v136, v128 row_shl:8 row_mask:0xf bank_mask:0xf bound_ctrl:1// 000000005874: 7F1002FA FF090880
	v_and_b32_e32 v128, v128, v9                               // 00000000587C: 27001380
	v_mov_b32_dpp v137, v129 row_shl:8 row_mask:0xf bank_mask:0xf bound_ctrl:1// 000000005880: 7F1202FA FF090881
	v_and_b32_e32 v129, v129, v9                               // 000000005888: 27021381
	s_waitcnt lgkmcnt(2)                                       // 00000000588C: BF8CC27F
	v_mov_b32_dpp v138, v130 row_shl:8 row_mask:0xf bank_mask:0xf bound_ctrl:1// 000000005890: 7F1402FA FF090882
	v_and_b32_e32 v130, v130, v9                               // 000000005898: 27041382
	v_mov_b32_dpp v139, v131 row_shl:8 row_mask:0xf bank_mask:0xf bound_ctrl:1// 00000000589C: 7F1602FA FF090883
	v_and_b32_e32 v131, v131, v9                               // 0000000058A4: 27061383
	s_waitcnt lgkmcnt(1)                                       // 0000000058A8: BF8CC17F
	v_mov_b32_dpp v140, v132 row_shl:8 row_mask:0xf bank_mask:0xf bound_ctrl:1// 0000000058AC: 7F1802FA FF090884
	v_and_b32_e32 v132, v132, v9                               // 0000000058B4: 27081384
	v_mov_b32_dpp v141, v133 row_shl:8 row_mask:0xf bank_mask:0xf bound_ctrl:1// 0000000058B8: 7F1A02FA FF090885
	v_and_b32_e32 v133, v133, v9                               // 0000000058C0: 270A1385
	s_waitcnt lgkmcnt(0)                                       // 0000000058C4: BF8CC07F
	v_mov_b32_dpp v142, v134 row_shl:8 row_mask:0xf bank_mask:0xf bound_ctrl:1// 0000000058C8: 7F1C02FA FF090886
	v_and_b32_e32 v134, v134, v9                               // 0000000058D0: 270C1386
	v_mov_b32_dpp v143, v135 row_shl:8 row_mask:0xf bank_mask:0xf bound_ctrl:1// 0000000058D4: 7F1E02FA FF090887
	v_and_b32_e32 v135, v135, v9                               // 0000000058DC: 270E1387
	s_waitcnt vmcnt(0)                                         // 0000000058E0: BF8C0F70
	s_barrier                                                  // 0000000058E4: BF8A0000
	v_mfma_i32_16x16x32_i8 v[192:195], a[96:97], v[128:129], 0 // 0000000058E8: D3D700C0 0A030160
	v_mfma_i32_16x16x32_i8 v[192:195], a[98:99], v[130:131], v[192:195]// 0000000058F0: D3D700C0 0F030562
	v_mfma_i32_16x16x32_i8 v[192:195], a[100:101], v[132:133], v[192:195]// 0000000058F8: D3D700C0 0F030964
	v_mfma_i32_16x16x32_i8 v[192:195], a[102:103], v[134:135], v[192:195]// 000000005900: D3D700C0 0F030D66
	v_mfma_i32_16x16x32_i8 v[192:195], a[104:105], v[136:137], v[192:195]// 000000005908: D3D700C0 0F031168
	v_mfma_i32_16x16x32_i8 v[192:195], a[106:107], v[138:139], v[192:195]// 000000005910: D3D700C0 0F03156A
	v_mfma_i32_16x16x32_i8 v[192:195], a[108:109], v[140:141], v[192:195]// 000000005918: D3D700C0 0F03196C
	v_mfma_i32_16x16x32_i8 v[192:195], a[110:111], v[142:143], v[192:195]// 000000005920: D3D700C0 0F031D6E
	v_mfma_i32_16x16x32_i8 v[196:199], a[112:113], v[128:129], 0// 000000005928: D3D700C4 0A030170
	v_mfma_i32_16x16x32_i8 v[196:199], a[114:115], v[130:131], v[196:199]// 000000005930: D3D700C4 0F130572
	v_mfma_i32_16x16x32_i8 v[196:199], a[116:117], v[132:133], v[196:199]// 000000005938: D3D700C4 0F130974
	v_mfma_i32_16x16x32_i8 v[196:199], a[118:119], v[134:135], v[196:199]// 000000005940: D3D700C4 0F130D76
	v_mfma_i32_16x16x32_i8 v[196:199], a[120:121], v[136:137], v[196:199]// 000000005948: D3D700C4 0F131178
	v_mfma_i32_16x16x32_i8 v[196:199], a[122:123], v[138:139], v[196:199]// 000000005950: D3D700C4 0F13157A
	v_mfma_i32_16x16x32_i8 v[196:199], a[124:125], v[140:141], v[196:199]// 000000005958: D3D700C4 0F13197C
	v_mfma_i32_16x16x32_i8 v[196:199], a[126:127], v[142:143], v[196:199]// 000000005960: D3D700C4 0F131D7E
	s_nop 4                                                    // 000000005968: BF800004
	s_branch label_0DDC                                        // 00000000596C: BF820000

0000000000005970 <label_0DDC>:
	v_mul_f32_e32 v224, v63, v224                              // 000000005970: 0BC1C13F
	v_mul_f32_e32 v225, v63, v225                              // 000000005974: 0BC3C33F
	v_mul_f32_e32 v226, v63, v226                              // 000000005978: 0BC5C53F
	v_mul_f32_e32 v227, v63, v227                              // 00000000597C: 0BC7C73F
	v_or_b32_dpp v192, v196, v192 row_shr:8 row_mask:0xf bank_mask:0xf bound_ctrl:1// 000000005980: 298180FA FF0918C4
	v_or_b32_dpp v193, v197, v193 row_shr:8 row_mask:0xf bank_mask:0xf bound_ctrl:1// 000000005988: 298382FA FF0918C5
	v_or_b32_dpp v194, v198, v194 row_shr:8 row_mask:0xf bank_mask:0xf bound_ctrl:1// 000000005990: 298584FA FF0918C6
	v_or_b32_dpp v195, v199, v195 row_shr:8 row_mask:0xf bank_mask:0xf bound_ctrl:1// 000000005998: 298786FA FF0918C7
	v_cvt_f32_i32_e32 v192, v192                               // 0000000059A0: 7F800BC0
	v_cvt_f32_i32_e32 v193, v193                               // 0000000059A4: 7F820BC1
	v_cvt_f32_i32_e32 v194, v194                               // 0000000059A8: 7F840BC2
	v_cvt_f32_i32_e32 v195, v195                               // 0000000059AC: 7F860BC3
	v_mul_f32_e32 v192, v58, v192                              // 0000000059B0: 0B81813A
	v_mul_f32_e32 v193, v58, v193                              // 0000000059B4: 0B83833A
	v_mul_f32_e32 v194, v58, v194                              // 0000000059B8: 0B85853A
	v_mul_f32_e32 v195, v58, v195                              // 0000000059BC: 0B87873A
	v_add_f32_e32 v224, v224, v192                             // 0000000059C0: 03C181E0
	v_add_f32_e32 v225, v225, v193                             // 0000000059C4: 03C383E1
	v_add_f32_e32 v226, v226, v194                             // 0000000059C8: 03C585E2
	v_add_f32_e32 v227, v227, v195                             // 0000000059CC: 03C787E3
	ds_write_b32 v11, v47 offset:16896                         // 0000000059D0: D81A4200 00002F0B
	s_waitcnt lgkmcnt(0)                                       // 0000000059D8: BF8CC07F
	s_barrier                                                  // 0000000059DC: BF8A0000
	ds_read_b32 v80, v10 offset:16896                          // 0000000059E0: D86C4200 5000000A
	ds_read_b32 v81, v10 offset:16960                          // 0000000059E8: D86C4240 5100000A
	ds_read_b32 v82, v10 offset:17024                          // 0000000059F0: D86C4280 5200000A
	ds_read_b32 v83, v10 offset:17088                          // 0000000059F8: D86C42C0 5300000A
	ds_read_b32 v84, v10 offset:17152                          // 000000005A00: D86C4300 5400000A
	ds_read_b32 v85, v10 offset:17216                          // 000000005A08: D86C4340 5500000A
	ds_read_b32 v86, v10 offset:17280                          // 000000005A10: D86C4380 5600000A
	ds_read_b32 v87, v10 offset:17344                          // 000000005A18: D86C43C0 5700000A
	ds_read_b32 v88, v10 offset:17408                          // 000000005A20: D86C4400 5800000A
	ds_read_b32 v89, v10 offset:17472                          // 000000005A28: D86C4440 5900000A
	ds_read_b32 v90, v10 offset:17536                          // 000000005A30: D86C4480 5A00000A
	ds_read_b32 v91, v10 offset:17600                          // 000000005A38: D86C44C0 5B00000A
	ds_read_b32 v92, v10 offset:17664                          // 000000005A40: D86C4500 5C00000A
	ds_read_b32 v93, v10 offset:17728                          // 000000005A48: D86C4540 5D00000A
	ds_read_b32 v94, v10 offset:17792                          // 000000005A50: D86C4580 5E00000A
	ds_read_b32 v95, v10 offset:17856                          // 000000005A58: D86C45C0 5F00000A
	s_waitcnt lgkmcnt(0)                                       // 000000005A60: BF8CC07F
	v_mov_b32_e32 v47, 0                                       // 000000005A64: 7E5E0280
	v_add_f32_e32 v47, v80, v47                                // 000000005A68: 025E5F50
	v_add_f32_e32 v47, v81, v47                                // 000000005A6C: 025E5F51
	v_add_f32_e32 v47, v82, v47                                // 000000005A70: 025E5F52
	v_add_f32_e32 v47, v83, v47                                // 000000005A74: 025E5F53
	v_add_f32_e32 v47, v84, v47                                // 000000005A78: 025E5F54
	v_add_f32_e32 v47, v85, v47                                // 000000005A7C: 025E5F55
	v_add_f32_e32 v47, v86, v47                                // 000000005A80: 025E5F56
	v_add_f32_e32 v47, v87, v47                                // 000000005A84: 025E5F57
	v_add_f32_e32 v47, v88, v47                                // 000000005A88: 025E5F58
	v_add_f32_e32 v47, v89, v47                                // 000000005A8C: 025E5F59
	v_add_f32_e32 v47, v90, v47                                // 000000005A90: 025E5F5A
	v_add_f32_e32 v47, v91, v47                                // 000000005A94: 025E5F5B
	v_add_f32_e32 v47, v92, v47                                // 000000005A98: 025E5F5C
	v_add_f32_e32 v47, v93, v47                                // 000000005A9C: 025E5F5D
	v_add_f32_e32 v47, v94, v47                                // 000000005AA0: 025E5F5E
	v_add_f32_e32 v47, v95, v47                                // 000000005AA4: 025E5F5F
	s_nop 1                                                    // 000000005AA8: BF800001
	v_mov_b32_dpp v41, v47 row_ror:8 row_mask:0xf bank_mask:0xf// 000000005AAC: 7E5202FA FF01282F
	v_add_f32_e32 v47, v47, v41                                // 000000005AB4: 025E532F
	v_rcp_f32_e32 v47, v47                                     // 000000005AB8: 7E5E452F
	s_nop 1                                                    // 000000005ABC: BF800001
	v_mul_f32_e32 v224, v47, v224                              // 000000005AC0: 0BC1C12F
	v_mul_f32_e32 v225, v47, v225                              // 000000005AC4: 0BC3C32F
	v_mul_f32_e32 v226, v47, v226                              // 000000005AC8: 0BC5C52F
	v_mul_f32_e32 v227, v47, v227                              // 000000005ACC: 0BC7C72F
	v_cvt_pkrtz_f16_f32 v41, v224, v225                        // 000000005AD0: D2960029 0003C3E0
	v_mov_b32_e32 v224, v41                                    // 000000005AD8: 7FC00329
	v_cvt_pkrtz_f16_f32 v41, v226, v227                        // 000000005ADC: D2960029 0003C7E2
	v_mov_b32_e32 v225, v41                                    // 000000005AE4: 7FC20329
	s_nop 1                                                    // 000000005AE8: BF800001
	v_mov_b32_dpp v226, v224 row_shl:8 row_mask:0xf bank_mask:0xf bound_ctrl:1// 000000005AEC: 7FC402FA FF0908E0
	v_and_b32_e32 v224, v224, v9                               // 000000005AF4: 27C013E0
	v_mov_b32_dpp v227, v225 row_shl:8 row_mask:0xf bank_mask:0xf bound_ctrl:1// 000000005AF8: 7FC602FA FF0908E1
	v_and_b32_e32 v225, v225, v9                               // 000000005B00: 27C213E1
	v_lshrrev_b32_e32 v41, 4, v0                               // 000000005B04: 20520084
	v_mul_i32_i24_e32 v5, 34, v41                              // 000000005B08: 0C0A52A2
	v_and_b32_e32 v41, 15, v0                                  // 000000005B0C: 2652008F
	v_mul_i32_i24_e32 v42, 2, v41                              // 000000005B10: 0C545282
	v_add_u32_e32 v5, v42, v5                                  // 000000005B14: 680A0B2A
	s_mul_i32 s60, s7, 0x88                                    // 000000005B18: 923CFF07 00000088
	v_add_u32_e32 v5, s60, v5                                  // 000000005B20: 680A0A3C
	v_lshlrev_b32_e32 v5, 2, v5                                // 000000005B24: 240A0A82
	ds_write_b64 v5, v[224:225] offset:41472                   // 000000005B28: D89AA200 0000E005
	ds_write_b64 v5, v[226:227] offset:43648                   // 000000005B30: D89AAA80 0000E205
	v_lshrrev_b32_e32 v41, 1, v0                               // 000000005B38: 20520081
	v_mul_i32_i24_e32 v5, 34, v41                              // 000000005B3C: 0C0A52A2
	v_and_b32_e32 v42, 1, v0                                   // 000000005B40: 26540081
	v_add_u32_e32 v5, v42, v5                                  // 000000005B44: 680A0B2A
	s_mul_i32 s60, s7, 2                                       // 000000005B48: 923C8207
	v_add_u32_e32 v5, s60, v5                                  // 000000005B4C: 680A0A3C
	v_lshlrev_b32_e32 v5, 2, v5                                // 000000005B50: 240A0A82
	s_waitcnt lgkmcnt(0)                                       // 000000005B54: BF8CC07F
	s_barrier                                                  // 000000005B58: BF8A0000
	ds_read_b32 v224, v5 offset:41472                          // 000000005B5C: D86CA200 E0000005
	ds_read_b32 v225, v5 offset:41504                          // 000000005B64: D86CA220 E1000005
	s_waitcnt lgkmcnt(0)                                       // 000000005B6C: BF8CC07F
	buffer_store_dword v224, v8, s[8:11], 0 offen              // 000000005B70: E0701000 8002E008
	buffer_store_dword v225, v8, s[8:11], 0 offen offset:1024  // 000000005B78: E0701400 8002E108
	s_mul_i32 s60, 0x100, s77                                  // 000000005B80: 923C4DFF 00000100
	s_add_u32 s8, s60, s8                                      // 000000005B88: 8008083C
	s_addc_u32 s9, 0, s9                                       // 000000005B8C: 82090980
	s_branch label_49F4                                        // 000000005B90: BF823B8F

0000000000005b94 <label_0E65>:
	s_mul_i32 s60, s3, s65                                     // 000000005B94: 923C4103
	s_mul_i32 s60, s60, 4                                      // 000000005B98: 923C843C
	s_add_u32 s24, s60, s24                                    // 000000005B9C: 8018183C
	s_addc_u32 s25, 0, s25                                     // 000000005BA0: 82191980
	s_mov_b32 s56, 64                                          // 000000005BA4: BEB800C0
	s_add_u32 s73, s72, 15                                     // 000000005BA8: 80498F48
	s_lshr_b32 s73, s73, 4                                     // 000000005BAC: 8F498449
	s_mul_i32 s60, s73, 4                                      // 000000005BB0: 923C8449
	s_mov_b32 s26, s60                                         // 000000005BB4: BE9A003C
	s_sub_u32 s89, s72, s86                                    // 000000005BB8: 80D95648
	s_mov_b32 s90, 0xff                                        // 000000005BBC: BEDA00FF 000000FF
	s_mov_b32 s91, 0x100                                       // 000000005BC4: BEDB00FF 00000100
	v_and_b32_e32 v42, 3, v0                                   // 000000005BCC: 26540083
	v_cmp_eq_u32_e64 s[60:61], 0, v42                          // 000000005BD0: D0CA003C 00025480
	v_and_b32_e32 v41, 12, v0                                  // 000000005BD8: 2652008C
	v_add_u32_e32 v1, s7, v41                                  // 000000005BDC: 68025207
	v_cndmask_b32_e64 v1, 0, v1, s[60:61]                      // 000000005BE0: D1000001 00F20280
	v_and_b32_e32 v42, 3, v0                                   // 000000005BE8: 26540083
	v_cmp_eq_u32_e64 s[60:61], 1, v42                          // 000000005BEC: D0CA003C 00025481
	v_lshrrev_b32_e32 v41, 4, v0                               // 000000005BF4: 20520084
	v_and_b32_e32 v42, 12, v0                                  // 000000005BF8: 2654008C
	v_add_u32_e32 v41, v42, v41                                // 000000005BFC: 6852532A
	v_cndmask_b32_e64 v41, 0, v41, s[60:61]                    // 000000005C00: D1000029 00F25280
	v_add_u32_e32 v1, v1, v41                                  // 000000005C08: 68025301
	v_lshlrev_b32_e32 v1, 2, v1                                // 000000005C0C: 24020282
	buffer_load_dword v19, v1, s[24:27], 0 offen               // 000000005C10: E0501000 80061301
	v_add_u32_e32 v1, s56, v1                                  // 000000005C18: 68020238
	buffer_load_dword v20, v1, s[24:27], 0 offen               // 000000005C1C: E0501000 80061401
	s_cmp_le_u32 s73, 32                                       // 000000005C24: BF0BA049
	s_cselect_b32 s56, 0, s56                                  // 000000005C28: 85383880
	s_mul_i32 s60, s2, s67                                     // 000000005C2C: 923C4302
	s_mul_i32 s61, s84, s74                                    // 000000005C30: 923D4A54
	s_add_u32 s60, s60, s61                                    // 000000005C34: 803C3D3C
	s_add_u32 s12, s60, s12                                    // 000000005C38: 800C0C3C
	s_addc_u32 s13, 0, s13                                     // 000000005C3C: 820D0D80
	s_mul_i32 s60, s7, 0x108                                   // 000000005C40: 923CFF07 00000108
	s_add_u32 m0, 0, s60                                       // 000000005C48: 807C3C80
	s_mul_i32 s60, s7, 0x100                                   // 000000005C4C: 923CFF07 00000100
	v_lshlrev_b32_e32 v41, 2, v0                               // 000000005C54: 24520082
	v_add_u32_e64 v41, v41, s60                                // 000000005C58: D1340029 00007929
	v_add_u32_e32 v42, 0x400, v41                              // 000000005C60: 685452FF 00000400
	buffer_load_dword v41, s[12:15], 0 offen lds               // 000000005C68: E0511000 80030029
	s_mul_i32 s60, 4, 0x108                                    // 000000005C70: 923CFF84 00000108
	s_add_u32 m0, m0, s60                                      // 000000005C78: 807C3C7C
	buffer_load_dword v42, s[12:15], 0 offen lds               // 000000005C7C: E0511000 8003002A
	s_mul_i32 s60, 4, 0x108                                    // 000000005C84: 923CFF84 00000108
	s_add_u32 m0, m0, s60                                      // 000000005C8C: 807C3C7C
	s_add_u32 s12, s74, s12                                    // 000000005C90: 800C0C4A
	s_addc_u32 s13, 0, s13                                     // 000000005C94: 820D0D80
	buffer_load_dword v41, s[12:15], 0 offen lds               // 000000005C98: E0511000 80030029
	s_mul_i32 s60, 4, 0x108                                    // 000000005CA0: 923CFF84 00000108
	s_add_u32 m0, m0, s60                                      // 000000005CA8: 807C3C7C
	buffer_load_dword v42, s[12:15], 0 offen lds               // 000000005CAC: E0511000 8003002A
	s_mul_i32 s60, 4, 0x108                                    // 000000005CB4: 923CFF84 00000108
	s_add_u32 m0, m0, s60                                      // 000000005CBC: 807C3C7C
	v_lshrrev_b32_e32 v41, 4, v0                               // 000000005CC0: 20520084
	v_lshlrev_b32_e32 v41, 2, v41                              // 000000005CC4: 24525282
	v_and_b32_e32 v42, 3, v0                                   // 000000005CC8: 26540083
	v_add_u32_e32 v41, v42, v41                                // 000000005CCC: 6852532A
	v_lshlrev_b32_e32 v74, 2, v41                              // 000000005CD0: 24945282
	v_mov_b32_e32 v75, v74                                     // 000000005CD4: 7E96034A
	s_mul_i32 s60, s2, 64                                      // 000000005CD8: 923CC002
	s_add_u32 s32, s60, s32                                    // 000000005CDC: 8020203C
	s_addc_u32 s33, 0, s33                                     // 000000005CE0: 82212180
	s_add_u32 s36, s60, s36                                    // 000000005CE4: 8024243C
	s_addc_u32 s37, 0, s37                                     // 000000005CE8: 82252580
	s_mul_i32 s60, s2, s76                                     // 000000005CEC: 923C4C02
	s_mul_i32 s61, s84, s75                                    // 000000005CF0: 923D4B54
	s_add_u32 s60, s60, s61                                    // 000000005CF4: 803C3D3C
	s_add_u32 s8, s60, s8                                      // 000000005CF8: 8008083C
	s_addc_u32 s9, 0, s9                                       // 000000005CFC: 82090980
	s_mov_b32 s70, 0                                           // 000000005D00: BEC60080
	s_and_b32 s71, s72, 0xffffff00                             // 000000005D04: 8647FF48 FFFFFF00
	s_mov_b32 s42, 0xff00ff00                                  // 000000005D0C: BEAA00FF FF00FF00
	s_mov_b32 s43, 0xff00ff00                                  // 000000005D14: BEAB00FF FF00FF00
	s_mov_b32 s44, 0xf0f0f0f0                                  // 000000005D1C: BEAC00FF F0F0F0F0
	s_mov_b32 s45, 0xf0f0f0f0                                  // 000000005D24: BEAD00FF F0F0F0F0
	s_mov_b32 s78, 0xff00ff                                    // 000000005D2C: BECE00FF 00FF00FF
	s_mov_b32 s79, 0xff00ff                                    // 000000005D34: BECF00FF 00FF00FF
	v_mul_i32_i24_e64 v78, 64, s66                             // 000000005D3C: D106004E 000084C0
	v_mov_b32_e32 v68, s68                                     // 000000005D44: 7E880244
	s_mov_b32 s52, 0x7060302                                   // 000000005D48: BEB400FF 07060302
	s_mov_b32 s53, 0x400                                       // 000000005D50: BEB500FF 00000400
	s_mov_b32 s54, 0x40100                                     // 000000005D58: BEB600FF 00040100
	s_mov_b32 s55, 0x4020100                                   // 000000005D60: BEB700FF 04020100
	s_mov_b32 s6, 0x3fb8aa3b                                   // 000000005D68: BE8600FF 3FB8AA3B
	v_mov_b32_e32 v14, 0xff800000                              // 000000005D70: 7E1C02FF FF800000
	v_mov_b32_e32 v63, 0                                       // 000000005D78: 7E7E0280
	v_mov_b32_e32 v47, 0                                       // 000000005D7C: 7E5E0280
	v_mov_b32_e32 v58, 0                                       // 000000005D80: 7E740280
	v_mov_b32_e32 v22, 0xffff0000                              // 000000005D84: 7E2C02FF FFFF0000
	v_mov_b32_e32 v23, 0x7fff0000                              // 000000005D8C: 7E2E02FF 7FFF0000
	v_mov_b32_e32 v24, 0x7fff                                  // 000000005D94: 7E3002FF 00007FFF
	v_add_u32_e32 v1, s56, v1                                  // 000000005D9C: 68020238
	v_and_b32_e32 v10, 15, v0                                  // 000000005DA0: 2614008F
	v_lshlrev_b32_e32 v10, 2, v10                              // 000000005DA4: 24141482
	v_lshlrev_b32_e32 v11, 2, v0                               // 000000005DA8: 24160082
	s_mul_i32 s60, 0x100, s7                                   // 000000005DAC: 923C07FF 00000100
	v_add_u32_e32 v11, s60, v11                                // 000000005DB4: 6816163C
	v_lshrrev_b32_e32 v41, 4, v0                               // 000000005DB8: 20520084
	v_lshlrev_b32_e32 v42, 6, v41                              // 000000005DBC: 24545286
	v_and_b32_e32 v41, 15, v0                                  // 000000005DC0: 2652008F
	v_lshlrev_b32_e32 v41, 1, v41                              // 000000005DC4: 24525281
	v_add_u32_e32 v42, v41, v42                                // 000000005DC8: 68545529
	v_lshlrev_b32_e32 v12, 2, v42                              // 000000005DCC: 24185482
	v_lshrrev_b32_e32 v41, 5, v0                               // 000000005DD0: 20520085
	v_lshlrev_b32_e32 v42, 5, v41                              // 000000005DD4: 24545285
	v_and_b32_e32 v41, 31, v0                                  // 000000005DD8: 2652009F
	v_lshrrev_b32_e32 v43, 4, v41                              // 000000005DDC: 20565284
	v_add_u32_e32 v42, v43, v42                                // 000000005DE0: 6854552B
	v_and_b32_e32 v41, 15, v0                                  // 000000005DE4: 2652008F
	v_lshlrev_b32_e32 v41, 1, v41                              // 000000005DE8: 24525281
	v_add_u32_e32 v42, v41, v42                                // 000000005DEC: 68545529
	v_lshlrev_b32_e32 v41, 2, v42                              // 000000005DF0: 24525482
	s_mul_i32 s60, 0x100, s7                                   // 000000005DF4: 923C07FF 00000100
	v_add_u32_e64 v13, v41, s60                                // 000000005DFC: D134000D 00007929
	v_lshlrev_b32_e32 v6, 4, v0                                // 000000005E04: 240C0084
	s_mul_i32 s60, s2, s69                                     // 000000005E08: 923C4502
	s_add_u32 s16, s60, s16                                    // 000000005E0C: 8010103C
	s_addc_u32 s17, 0, s17                                     // 000000005E10: 82111180
	v_and_b32_e32 v41, 15, v0                                  // 000000005E14: 2652008F
	v_lshlrev_b32_e32 v7, 4, v41                               // 000000005E18: 240E5284
	s_mul_i32 s61, s2, s69                                     // 000000005E1C: 923D4502
	s_mul_i32 s60, s7, 0x100                                   // 000000005E20: 923CFF07 00000100
	s_add_u32 s60, s60, s61                                    // 000000005E28: 803C3D3C
	s_add_u32 s20, s60, s20                                    // 000000005E2C: 8014143C
	s_addc_u32 s21, 0, s21                                     // 000000005E30: 82151580
	s_waitcnt vmcnt(4)                                         // 000000005E34: BF8C0F74
	v_mul_u32_u24_dpp v41, v19, v68 row_newbcast:0 row_mask:0xf bank_mask:0xf// 000000005E38: 105288FA FF015013
	v_mul_u32_u24_dpp v42, v19, v68 row_newbcast:4 row_mask:0xf bank_mask:0xf// 000000005E40: 105488FA FF015413
	v_mul_u32_u24_dpp v43, v19, v68 row_newbcast:8 row_mask:0xf bank_mask:0xf// 000000005E48: 105688FA FF015813
	v_mul_u32_u24_dpp v44, v19, v68 row_newbcast:12 row_mask:0xf bank_mask:0xf// 000000005E50: 105888FA FF015C13
	v_add_u32_e32 v25, v41, v6                                 // 000000005E58: 68320D29
	v_add_u32_e32 v26, v42, v6                                 // 000000005E5C: 68340D2A
	v_add_u32_e32 v27, v43, v6                                 // 000000005E60: 68360D2B
	v_add_u32_e32 v28, v44, v6                                 // 000000005E64: 68380D2C
	v_mul_u32_u24_dpp v41, v19, v68 row_newbcast:1 row_mask:0xf bank_mask:0xf// 000000005E68: 105288FA FF015113
	v_mul_u32_u24_dpp v42, v19, v68 row_newbcast:5 row_mask:0xf bank_mask:0xf// 000000005E70: 105488FA FF015513
	v_mul_u32_u24_dpp v43, v19, v68 row_newbcast:9 row_mask:0xf bank_mask:0xf// 000000005E78: 105688FA FF015913
	v_mul_u32_u24_dpp v44, v19, v68 row_newbcast:13 row_mask:0xf bank_mask:0xf// 000000005E80: 105888FA FF015D13
	v_add_u32_e32 v33, v41, v7                                 // 000000005E88: 68420F29
	v_add_u32_e32 v34, v42, v7                                 // 000000005E8C: 68440F2A
	v_add_u32_e32 v35, v43, v7                                 // 000000005E90: 68460F2B
	v_add_u32_e32 v36, v44, v7                                 // 000000005E94: 68480F2C
	v_mul_u32_u24_dpp v41, v19, v78 quad_perm:[0,0,0,0] row_mask:0xf bank_mask:0xf// 000000005E98: 10529CFA FF000013
	v_add_u32_e32 v2, v41, v74                                 // 000000005EA0: 68049529
	v_mul_u32_u24_dpp v41, v19, v78 quad_perm:[0,0,0,0] row_mask:0xf bank_mask:0xf// 000000005EA4: 10529CFA FF000013
	v_add_u32_e32 v70, v41, v75                                // 000000005EAC: 688C9729
	buffer_load_dword v52, v2, s[32:35], 0 offen               // 000000005EB0: E0501000 80083402
	buffer_load_dwordx4 a[0:3], v25, s[16:19], 0 offen         // 000000005EB8: E05C1000 80840019
	buffer_load_dwordx4 a[4:7], v25, s[16:19], 0 offen offset:1024// 000000005EC0: E05C1400 80840419
	buffer_load_dwordx4 a[8:11], v26, s[16:19], 0 offen        // 000000005EC8: E05C1000 8084081A
	buffer_load_dwordx4 a[12:15], v26, s[16:19], 0 offen offset:1024// 000000005ED0: E05C1400 80840C1A
	buffer_load_dwordx4 a[16:19], v27, s[16:19], 0 offen       // 000000005ED8: E05C1000 8084101B
	buffer_load_dwordx4 a[20:23], v27, s[16:19], 0 offen offset:1024// 000000005EE0: E05C1400 8084141B
	buffer_load_dwordx4 a[24:27], v28, s[16:19], 0 offen       // 000000005EE8: E05C1000 8084181C
	buffer_load_dwordx4 a[28:31], v28, s[16:19], 0 offen offset:1024// 000000005EF0: E05C1400 80841C1C
	buffer_load_dword v72, v70, s[36:39], 0 offen              // 000000005EF8: E0501000 80094846
	buffer_load_dwordx4 a[64:67], v33, s[20:23], 0 offen       // 000000005F00: E05C1000 80854021
	buffer_load_dwordx4 a[68:71], v34, s[20:23], 0 offen       // 000000005F08: E05C1000 80854422
	buffer_load_dwordx4 a[72:75], v35, s[20:23], 0 offen       // 000000005F10: E05C1000 80854823
	buffer_load_dwordx4 a[76:79], v36, s[20:23], 0 offen       // 000000005F18: E05C1000 80854C24
	buffer_load_dwordx4 a[80:83], v33, s[20:23], 0 offen offset:1024// 000000005F20: E05C1400 80855021
	buffer_load_dwordx4 a[84:87], v34, s[20:23], 0 offen offset:1024// 000000005F28: E05C1400 80855422
	buffer_load_dwordx4 a[88:91], v35, s[20:23], 0 offen offset:1024// 000000005F30: E05C1400 80855823
	buffer_load_dwordx4 a[92:95], v36, s[20:23], 0 offen offset:1024// 000000005F38: E05C1400 80855C24
	v_lshrrev_b32_e32 v41, 4, v0                               // 000000005F40: 20520084
	v_lshlrev_b32_e32 v42, 1, v41                              // 000000005F44: 24545281
	v_and_b32_e32 v41, 15, v0                                  // 000000005F48: 2652008F
	v_mul_i32_i24_e32 v41, 0x42, v41                           // 000000005F4C: 0C5252FF 00000042
	v_add_u32_e32 v42, v41, v42                                // 000000005F54: 68545529
	v_lshlrev_b32_e32 v4, 2, v42                               // 000000005F58: 24085482
	s_mul_i32 s60, s7, 32                                      // 000000005F5C: 923CA007
	v_add_u32_e32 v4, s60, v4                                  // 000000005F60: 6808083C
	s_waitcnt vmcnt(16) lgkmcnt(0)                             // 000000005F64: BF8C4070
	s_barrier                                                  // 000000005F68: BF8A0000
	ds_read_b64 v[96:97], v4                                   // 000000005F6C: D8EC0000 60000004
	ds_read_b64 v[100:101], v4 offset:128                      // 000000005F74: D8EC0080 64000004
	s_waitcnt lgkmcnt(0)                                       // 000000005F7C: BF8CC07F
	v_and_b32_e32 v41, 0xffff, v96                             // 000000005F80: 2652C0FF 0000FFFF
	v_lshrrev_b32_e32 v42, 16, v96                             // 000000005F88: 2054C090
	v_and_b32_e32 v43, 0xffff, v97                             // 000000005F8C: 2656C2FF 0000FFFF
	v_lshrrev_b32_e32 v44, 16, v97                             // 000000005F94: 2058C290
	v_cvt_f32_f16_e32 v96, v41                                 // 000000005F98: 7EC01729
	v_cvt_f32_f16_e32 v97, v42                                 // 000000005F9C: 7EC2172A
	v_cvt_f32_f16_e32 v98, v43                                 // 000000005FA0: 7EC4172B
	v_cvt_f32_f16_e32 v99, v44                                 // 000000005FA4: 7EC6172C
	v_and_b32_e32 v41, 0xffff, v100                            // 000000005FA8: 2652C8FF 0000FFFF
	v_lshrrev_b32_e32 v42, 16, v100                            // 000000005FB0: 2054C890
	v_and_b32_e32 v43, 0xffff, v101                            // 000000005FB4: 2656CAFF 0000FFFF
	v_lshrrev_b32_e32 v44, 16, v101                            // 000000005FBC: 2058CA90
	v_cvt_f32_f16_e32 v100, v41                                // 000000005FC0: 7EC81729
	v_cvt_f32_f16_e32 v101, v42                                // 000000005FC4: 7ECA172A
	v_cvt_f32_f16_e32 v102, v43                                // 000000005FC8: 7ECC172B
	v_cvt_f32_f16_e32 v103, v44                                // 000000005FCC: 7ECE172C
	v_mov_b32_e32 v62, 0x358637bd                              // 000000005FD0: 7E7C02FF 358637BD
	v_max3_f32 v62, |v96|, |v97|, v62                          // 000000005FD8: D1D3033E 04FAC360
	v_max3_f32 v62, |v98|, |v99|, v62                          // 000000005FE0: D1D3033E 04FAC762
	v_max3_f32 v62, |v100|, |v101|, v62                        // 000000005FE8: D1D3033E 04FACB64
	v_max3_f32 v62, |v102|, |v103|, v62                        // 000000005FF0: D1D3033E 04FACF66
	ds_write_b32 v11, v62 offset:16896                         // 000000005FF8: D81A4200 00003E0B
	s_waitcnt lgkmcnt(0)                                       // 000000006000: BF8CC07F
	s_barrier                                                  // 000000006004: BF8A0000
	ds_read_b32 v80, v10 offset:16896                          // 000000006008: D86C4200 5000000A
	ds_read_b32 v81, v10 offset:16960                          // 000000006010: D86C4240 5100000A
	ds_read_b32 v82, v10 offset:17024                          // 000000006018: D86C4280 5200000A
	ds_read_b32 v83, v10 offset:17088                          // 000000006020: D86C42C0 5300000A
	ds_read_b32 v84, v10 offset:17152                          // 000000006028: D86C4300 5400000A
	ds_read_b32 v85, v10 offset:17216                          // 000000006030: D86C4340 5500000A
	ds_read_b32 v86, v10 offset:17280                          // 000000006038: D86C4380 5600000A
	ds_read_b32 v87, v10 offset:17344                          // 000000006040: D86C43C0 5700000A
	ds_read_b32 v88, v10 offset:17408                          // 000000006048: D86C4400 5800000A
	ds_read_b32 v89, v10 offset:17472                          // 000000006050: D86C4440 5900000A
	ds_read_b32 v90, v10 offset:17536                          // 000000006058: D86C4480 5A00000A
	ds_read_b32 v91, v10 offset:17600                          // 000000006060: D86C44C0 5B00000A
	ds_read_b32 v92, v10 offset:17664                          // 000000006068: D86C4500 5C00000A
	ds_read_b32 v93, v10 offset:17728                          // 000000006070: D86C4540 5D00000A
	ds_read_b32 v94, v10 offset:17792                          // 000000006078: D86C4580 5E00000A
	ds_read_b32 v95, v10 offset:17856                          // 000000006080: D86C45C0 5F00000A
	s_waitcnt lgkmcnt(0)                                       // 000000006088: BF8CC07F
	v_max3_f32 v62, |v80|, |v81|, v62                          // 00000000608C: D1D3033E 04FAA350
	v_max3_f32 v62, |v82|, |v83|, v62                          // 000000006094: D1D3033E 04FAA752
	v_max3_f32 v62, |v84|, |v85|, v62                          // 00000000609C: D1D3033E 04FAAB54
	v_max3_f32 v62, |v86|, |v87|, v62                          // 0000000060A4: D1D3033E 04FAAF56
	v_max3_f32 v62, |v88|, |v89|, v62                          // 0000000060AC: D1D3033E 04FAB358
	v_max3_f32 v62, |v90|, |v91|, v62                          // 0000000060B4: D1D3033E 04FAB75A
	v_max3_f32 v62, |v92|, |v93|, v62                          // 0000000060BC: D1D3033E 04FABB5C
	v_max3_f32 v62, |v94|, |v95|, v62                          // 0000000060C4: D1D3033E 04FABF5E
	v_rcp_f32_e32 v62, v62                                     // 0000000060CC: 7E7C453E
	s_nop 1                                                    // 0000000060D0: BF800001
	v_mul_f32_e32 v62, 0x42fe0000, v62                         // 0000000060D4: 0A7C7CFF 42FE0000
	v_mul_f32_e32 v96, v62, v96                                // 0000000060DC: 0AC0C13E
	v_mul_f32_e32 v97, v62, v97                                // 0000000060E0: 0AC2C33E
	v_mul_f32_e32 v98, v62, v98                                // 0000000060E4: 0AC4C53E
	v_mul_f32_e32 v99, v62, v99                                // 0000000060E8: 0AC6C73E
	v_mul_f32_e32 v100, v62, v100                              // 0000000060EC: 0AC8C93E
	v_mul_f32_e32 v101, v62, v101                              // 0000000060F0: 0ACACB3E
	v_mul_f32_e32 v102, v62, v102                              // 0000000060F4: 0ACCCD3E
	v_mul_f32_e32 v103, v62, v103                              // 0000000060F8: 0ACECF3E
	v_cvt_i32_f32_e32 v96, v96                                 // 0000000060FC: 7EC01160
	v_cvt_i32_f32_e32 v97, v97                                 // 000000006100: 7EC21161
	v_cvt_i32_f32_e32 v98, v98                                 // 000000006104: 7EC41162
	v_cvt_i32_f32_e32 v99, v99                                 // 000000006108: 7EC61163
	v_cvt_i32_f32_e32 v100, v100                               // 00000000610C: 7EC81164
	v_cvt_i32_f32_e32 v101, v101                               // 000000006110: 7ECA1165
	v_cvt_i32_f32_e32 v102, v102                               // 000000006114: 7ECC1166
	v_cvt_i32_f32_e32 v103, v103                               // 000000006118: 7ECE1167
	v_rcp_f32_e32 v54, v62                                     // 00000000611C: 7E6C453E
	v_perm_b32 v96, v97, v96, s53                              // 000000006120: D1ED0060 00D6C161
	v_perm_b32 v96, v98, v96, s54                              // 000000006128: D1ED0060 00DAC162
	v_perm_b32 v96, v99, v96, s55                              // 000000006130: D1ED0060 00DEC163
	v_perm_b32 v97, v101, v100, s53                            // 000000006138: D1ED0061 00D6C965
	v_perm_b32 v97, v102, v97, s54                             // 000000006140: D1ED0061 00DAC366
	v_perm_b32 v97, v103, v97, s55                             // 000000006148: D1ED0061 00DEC367
	ds_write_b32 v13, v96 offset:25088                         // 000000006150: D81A6200 0000600D
	ds_write_b32 v13, v97 offset:26112                         // 000000006158: D81A6600 0000610D
	s_waitcnt lgkmcnt(0)                                       // 000000006160: BF8CC07F
	s_barrier                                                  // 000000006164: BF8A0000
	ds_read_b64 v[96:97], v12 offset:25088                     // 000000006168: D8EC6200 6000000C
	ds_read_b64 v[98:99], v12 offset:25216                     // 000000006170: D8EC6280 6200000C
	ds_read_b64 v[100:101], v12 offset:26112                   // 000000006178: D8EC6600 6400000C
	ds_read_b64 v[102:103], v12 offset:26240                   // 000000006180: D8EC6680 6600000C
	v_mov_b32_e32 v224, 0                                      // 000000006188: 7FC00280
	v_mov_b32_e32 v225, 0                                      // 00000000618C: 7FC20280
	v_mov_b32_e32 v226, 0                                      // 000000006190: 7FC40280
	v_mov_b32_e32 v227, 0                                      // 000000006194: 7FC60280
	v_mov_b32_e32 v228, 0                                      // 000000006198: 7FC80280
	v_mov_b32_e32 v229, 0                                      // 00000000619C: 7FCA0280
	v_mov_b32_e32 v230, 0                                      // 0000000061A0: 7FCC0280
	v_mov_b32_e32 v231, 0                                      // 0000000061A4: 7FCE0280
	v_mov_b32_e32 v192, 0                                      // 0000000061A8: 7F800280
	v_mov_b32_e32 v193, 0                                      // 0000000061AC: 7F820280
	v_mov_b32_e32 v194, 0                                      // 0000000061B0: 7F840280
	v_mov_b32_e32 v195, 0                                      // 0000000061B4: 7F860280
	v_mov_b32_e32 v196, 0                                      // 0000000061B8: 7F880280
	v_mov_b32_e32 v197, 0                                      // 0000000061BC: 7F8A0280
	v_mov_b32_e32 v198, 0                                      // 0000000061C0: 7F8C0280
	v_mov_b32_e32 v199, 0                                      // 0000000061C4: 7F8E0280
	s_waitcnt vmcnt(8) lgkmcnt(0)                              // 0000000061C8: BF8C0078
	s_barrier                                                  // 0000000061CC: BF8A0000
	s_cmp_lt_u32 s73, 16                                       // 0000000061D0: BF0A9049
	s_cbranch_scc1 label_1BCD                                  // 0000000061D4: BF850BD7
	s_cmp_lt_i32 s7, 2                                         // 0000000061D8: BF048207
	s_cbranch_scc0 label_15E4                                  // 0000000061DC: BF8405EC

00000000000061e0 <label_0FF8>:
	s_waitcnt vmcnt(8) lgkmcnt(0)                              // 0000000061E0: BF8C0078
	v_mul_u32_u24_dpp v41, v20, v68 row_newbcast:0 row_mask:0xf bank_mask:0xf// 0000000061E4: 105288FA FF015014
	v_mul_u32_u24_dpp v42, v20, v68 row_newbcast:4 row_mask:0xf bank_mask:0xf// 0000000061EC: 105488FA FF015414
	v_mul_u32_u24_dpp v43, v20, v68 row_newbcast:8 row_mask:0xf bank_mask:0xf// 0000000061F4: 105688FA FF015814
	v_mul_u32_u24_dpp v44, v20, v68 row_newbcast:12 row_mask:0xf bank_mask:0xf// 0000000061FC: 105888FA FF015C14
	v_add_u32_e32 v29, v41, v6                                 // 000000006204: 683A0D29
	v_add_u32_e32 v30, v42, v6                                 // 000000006208: 683C0D2A
	v_add_u32_e32 v31, v43, v6                                 // 00000000620C: 683E0D2B
	v_add_u32_e32 v32, v44, v6                                 // 000000006210: 68400D2C
	v_mul_u32_u24_dpp v41, v20, v78 quad_perm:[0,0,0,0] row_mask:0xf bank_mask:0xf// 000000006214: 10529CFA FF000014
	v_add_u32_e32 v3, v41, v74                                 // 00000000621C: 68069529
	v_mul_u32_u24_dpp v41, v20, v78 quad_perm:[0,0,0,0] row_mask:0xf bank_mask:0xf// 000000006220: 10529CFA FF000014
	v_add_u32_e32 v71, v41, v75                                // 000000006228: 688E9729
	v_mfma_i32_16x16x32_i8 v[128:131], a[0:1], v[96:97], 0     // 00000000622C: D3D70080 0A02C100
	v_mfma_i32_16x16x32_i8 v[128:131], a[2:3], v[98:99], v[128:131]// 000000006234: D3D70080 0E02C502
	buffer_load_dwordx4 a[32:35], v29, s[16:19], 0 offen       // 00000000623C: E05C1000 8084201D
	v_mfma_i32_16x16x32_i8 v[128:131], a[4:5], v[100:101], v[128:131]// 000000006244: D3D70080 0E02C904
	v_mfma_i32_16x16x32_i8 v[128:131], a[6:7], v[102:103], v[128:131]// 00000000624C: D3D70080 0E02CD06
	buffer_load_dword v19, v1, s[24:27], 0 offen               // 000000006254: E0501000 80061301
	v_mfma_i32_16x16x32_i8 v[132:135], a[8:9], v[96:97], 0     // 00000000625C: D3D70084 0A02C108
	v_mfma_i32_16x16x32_i8 v[132:135], a[10:11], v[98:99], v[132:135]// 000000006264: D3D70084 0E12C50A
	buffer_load_dwordx4 a[36:39], v29, s[16:19], 0 offen offset:1024// 00000000626C: E05C1400 8084241D
	v_mfma_i32_16x16x32_i8 v[132:135], a[12:13], v[100:101], v[132:135]// 000000006274: D3D70084 0E12C90C
	v_mfma_i32_16x16x32_i8 v[132:135], a[14:15], v[102:103], v[132:135]// 00000000627C: D3D70084 0E12CD0E
	v_mfma_i32_16x16x32_i8 v[136:139], a[16:17], v[96:97], 0   // 000000006284: D3D70088 0A02C110
	v_mfma_i32_16x16x32_i8 v[136:139], a[18:19], v[98:99], v[136:139]// 00000000628C: D3D70088 0E22C512
	buffer_load_dwordx4 a[40:43], v30, s[16:19], 0 offen       // 000000006294: E05C1000 8084281E
	v_mfma_i32_16x16x32_i8 v[136:139], a[20:21], v[100:101], v[136:139]// 00000000629C: D3D70088 0E22C914
	v_mfma_i32_16x16x32_i8 v[136:139], a[22:23], v[102:103], v[136:139]// 0000000062A4: D3D70088 0E22CD16
	v_mfma_i32_16x16x32_i8 v[140:143], a[24:25], v[96:97], 0   // 0000000062AC: D3D7008C 0A02C118
	v_mfma_i32_16x16x32_i8 v[140:143], a[26:27], v[98:99], v[140:143]// 0000000062B4: D3D7008C 0E32C51A
	buffer_load_dwordx4 a[44:47], v30, s[16:19], 0 offen offset:1024// 0000000062BC: E05C1400 80842C1E
	v_mfma_i32_16x16x32_i8 v[140:143], a[28:29], v[100:101], v[140:143]// 0000000062C4: D3D7008C 0E32C91C
	v_mfma_i32_16x16x32_i8 v[140:143], a[30:31], v[102:103], v[140:143]// 0000000062CC: D3D7008C 0E32CD1E
	buffer_load_dword v53, v3, s[32:35], 0 offen               // 0000000062D4: E0501000 80083503
	v_mov_b32_dpp v41, v52 row_shr:4 row_mask:0xf bank_mask:0xf// 0000000062DC: 7E5202FA FF011434
	v_mov_b32_dpp v42, v52 row_shl:4 row_mask:0xf bank_mask:0xf// 0000000062E4: 7E5402FA FF010434
	v_cndmask_b32_e64 v248, v52, v41, s[44:45]                 // 0000000062EC: D10000F8 00B25334
	v_cndmask_b32_e64 v249, v42, v52, s[44:45]                 // 0000000062F4: D10000F9 00B2692A
	v_mov_b32_dpp v41, v248 row_shr:8 row_mask:0xf bank_mask:0xf// 0000000062FC: 7E5202FA FF0118F8
	v_mov_b32_dpp v42, v248 row_shl:8 row_mask:0xf bank_mask:0xf// 000000006304: 7E5402FA FF0108F8
	v_mov_b32_dpp v43, v249 row_shr:8 row_mask:0xf bank_mask:0xf// 00000000630C: 7E5602FA FF0118F9
	v_mov_b32_dpp v44, v249 row_shl:8 row_mask:0xf bank_mask:0xf// 000000006314: 7E5802FA FF0108F9
	v_mov_b32_e32 v45, v248                                    // 00000000631C: 7E5A03F8
	v_mov_b32_e32 v46, v249                                    // 000000006320: 7E5C03F9
	v_cndmask_b32_e64 v248, v45, v41, s[42:43]                 // 000000006324: D10000F8 00AA532D
	v_cndmask_b32_e64 v250, v45, v42, s[78:79]                 // 00000000632C: D10000FA 013A552D
	v_cndmask_b32_e64 v249, v46, v43, s[42:43]                 // 000000006334: D10000F9 00AA572E
	v_cndmask_b32_e64 v251, v46, v44, s[78:79]                 // 00000000633C: D10000FB 013A592E
	v_mov_b32_dpp v41, v72 row_shr:4 row_mask:0xf bank_mask:0xf// 000000006344: 7E5202FA FF011448
	v_mov_b32_dpp v42, v72 row_shl:4 row_mask:0xf bank_mask:0xf// 00000000634C: 7E5402FA FF010448
	v_cndmask_b32_e64 v252, v72, v41, s[44:45]                 // 000000006354: D10000FC 00B25348
	v_cndmask_b32_e64 v253, v42, v72, s[44:45]                 // 00000000635C: D10000FD 00B2912A
	v_mov_b32_dpp v41, v252 row_shr:8 row_mask:0xf bank_mask:0xf// 000000006364: 7E5202FA FF0118FC
	v_mov_b32_dpp v42, v252 row_shl:8 row_mask:0xf bank_mask:0xf// 00000000636C: 7E5402FA FF0108FC
	v_mov_b32_dpp v43, v253 row_shr:8 row_mask:0xf bank_mask:0xf// 000000006374: 7E5602FA FF0118FD
	v_mov_b32_dpp v44, v253 row_shl:8 row_mask:0xf bank_mask:0xf// 00000000637C: 7E5802FA FF0108FD
	v_mov_b32_e32 v45, v252                                    // 000000006384: 7E5A03FC
	v_mov_b32_e32 v46, v253                                    // 000000006388: 7E5C03FD
	v_cndmask_b32_e64 v252, v45, v41, s[42:43]                 // 00000000638C: D10000FC 00AA532D
	v_cndmask_b32_e64 v254, v45, v42, s[78:79]                 // 000000006394: D10000FE 013A552D
	v_cndmask_b32_e64 v253, v46, v43, s[42:43]                 // 00000000639C: D10000FD 00AA572E
	v_cndmask_b32_e64 v255, v46, v44, s[78:79]                 // 0000000063A4: D10000FF 013A592E
	buffer_load_dword v73, v71, s[36:39], 0 offen              // 0000000063AC: E0501000 80094947
	v_cvt_f32_i32_e32 v128, v128                               // 0000000063B4: 7F000B80
	v_cvt_f32_i32_e32 v129, v129                               // 0000000063B8: 7F020B81
	v_cvt_f32_i32_e32 v130, v130                               // 0000000063BC: 7F040B82
	v_cvt_f32_i32_e32 v131, v131                               // 0000000063C0: 7F060B83
	v_cvt_f32_i32_e32 v132, v132                               // 0000000063C4: 7F080B84
	v_cvt_f32_i32_e32 v133, v133                               // 0000000063C8: 7F0A0B85
	v_cvt_f32_i32_e32 v134, v134                               // 0000000063CC: 7F0C0B86
	v_cvt_f32_i32_e32 v135, v135                               // 0000000063D0: 7F0E0B87
	v_cvt_f32_i32_e32 v136, v136                               // 0000000063D4: 7F100B88
	v_cvt_f32_i32_e32 v137, v137                               // 0000000063D8: 7F120B89
	v_cvt_f32_i32_e32 v138, v138                               // 0000000063DC: 7F140B8A
	v_cvt_f32_i32_e32 v139, v139                               // 0000000063E0: 7F160B8B
	v_cvt_f32_i32_e32 v140, v140                               // 0000000063E4: 7F180B8C
	v_cvt_f32_i32_e32 v141, v141                               // 0000000063E8: 7F1A0B8D
	v_cvt_f32_i32_e32 v142, v142                               // 0000000063EC: 7F1C0B8E
	v_cvt_f32_i32_e32 v143, v143                               // 0000000063F0: 7F1E0B8F
	v_mul_f32_e32 v128, v54, v128                              // 0000000063F4: 0B010136
	v_mul_f32_e32 v129, v54, v129                              // 0000000063F8: 0B030336
	v_mul_f32_e32 v130, v54, v130                              // 0000000063FC: 0B050536
	v_mul_f32_e32 v131, v54, v131                              // 000000006400: 0B070736
	v_mul_f32_e32 v132, v54, v132                              // 000000006404: 0B090936
	v_mul_f32_e32 v133, v54, v133                              // 000000006408: 0B0B0B36
	v_mul_f32_e32 v134, v54, v134                              // 00000000640C: 0B0D0D36
	v_mul_f32_e32 v135, v54, v135                              // 000000006410: 0B0F0F36
	v_mul_f32_e32 v136, v54, v136                              // 000000006414: 0B111136
	v_mul_f32_e32 v137, v54, v137                              // 000000006418: 0B131336
	v_mul_f32_e32 v138, v54, v138                              // 00000000641C: 0B151536
	v_mul_f32_e32 v139, v54, v139                              // 000000006420: 0B171736
	v_mul_f32_e32 v140, v54, v140                              // 000000006424: 0B191936
	v_mul_f32_e32 v141, v54, v141                              // 000000006428: 0B1B1B36
	v_mul_f32_e32 v142, v54, v142                              // 00000000642C: 0B1D1D36
	v_mul_f32_e32 v143, v54, v143                              // 000000006430: 0B1F1F36
	buffer_load_dwordx4 a[48:51], v31, s[16:19], 0 offen       // 000000006434: E05C1000 8084301F
	v_mul_f32_dpp v128, v248, v128 quad_perm:[0,0,0,0] row_mask:0xf bank_mask:0xf// 00000000643C: 0B0100FA FF0000F8
	v_mul_f32_dpp v129, v248, v129 quad_perm:[1,1,1,1] row_mask:0xf bank_mask:0xf// 000000006444: 0B0302FA FF0055F8
	v_mul_f32_dpp v130, v248, v130 quad_perm:[2,2,2,2] row_mask:0xf bank_mask:0xf// 00000000644C: 0B0504FA FF00AAF8
	v_mul_f32_dpp v131, v248, v131 quad_perm:[3,3,3,3] row_mask:0xf bank_mask:0xf// 000000006454: 0B0706FA FF00FFF8
	v_mul_f32_dpp v132, v249, v132 quad_perm:[0,0,0,0] row_mask:0xf bank_mask:0xf// 00000000645C: 0B0908FA FF0000F9
	v_mul_f32_dpp v133, v249, v133 quad_perm:[1,1,1,1] row_mask:0xf bank_mask:0xf// 000000006464: 0B0B0AFA FF0055F9
	v_mul_f32_dpp v134, v249, v134 quad_perm:[2,2,2,2] row_mask:0xf bank_mask:0xf// 00000000646C: 0B0D0CFA FF00AAF9
	v_mul_f32_dpp v135, v249, v135 quad_perm:[3,3,3,3] row_mask:0xf bank_mask:0xf// 000000006474: 0B0F0EFA FF00FFF9
	v_mul_f32_dpp v136, v250, v136 quad_perm:[0,0,0,0] row_mask:0xf bank_mask:0xf// 00000000647C: 0B1110FA FF0000FA
	v_mul_f32_dpp v137, v250, v137 quad_perm:[1,1,1,1] row_mask:0xf bank_mask:0xf// 000000006484: 0B1312FA FF0055FA
	v_mul_f32_dpp v138, v250, v138 quad_perm:[2,2,2,2] row_mask:0xf bank_mask:0xf// 00000000648C: 0B1514FA FF00AAFA
	v_mul_f32_dpp v139, v250, v139 quad_perm:[3,3,3,3] row_mask:0xf bank_mask:0xf// 000000006494: 0B1716FA FF00FFFA
	v_mul_f32_dpp v140, v251, v140 quad_perm:[0,0,0,0] row_mask:0xf bank_mask:0xf// 00000000649C: 0B1918FA FF0000FB
	v_mul_f32_dpp v141, v251, v141 quad_perm:[1,1,1,1] row_mask:0xf bank_mask:0xf// 0000000064A4: 0B1B1AFA FF0055FB
	v_mul_f32_dpp v142, v251, v142 quad_perm:[2,2,2,2] row_mask:0xf bank_mask:0xf// 0000000064AC: 0B1D1CFA FF00AAFB
	v_mul_f32_dpp v143, v251, v143 quad_perm:[3,3,3,3] row_mask:0xf bank_mask:0xf// 0000000064B4: 0B1F1EFA FF00FFFB
	buffer_load_dwordx4 a[52:55], v31, s[16:19], 0 offen offset:1024// 0000000064BC: E05C1400 8084341F
	s_cmp_le_i32 s90, s89                                      // 0000000064C4: BF05595A
	s_cbranch_scc1 label_1126                                  // 0000000064C8: BF850073
	v_mov_b32_e32 v69, 0xff800000                              // 0000000064CC: 7E8A02FF FF800000
	s_mov_b32 s60, s90                                         // 0000000064D4: BEBC005A
	s_add_u32 s61, s89, 0xff                                   // 0000000064D8: 803DFF59 000000FF
	v_mov_b32_e32 v41, s61                                     // 0000000064E0: 7E52023D
	v_lshrrev_b32_e32 v240, 4, v0                              // 0000000064E4: 21E00084
	v_mul_i32_i24_e32 v240, 4, v240                            // 0000000064E8: 0DE1E084
	v_add_u32_e32 v240, s60, v240                              // 0000000064EC: 69E1E03C
	v_and_b32_e32 v42, 15, v0                                  // 0000000064F0: 2654008F
	v_lshrrev_b32_e32 v42, 3, v42                              // 0000000064F4: 20545483
	s_mov_b32 s61, 0                                           // 0000000064F8: BEBD0080
	s_mul_i32 s60, 16, s7                                      // 0000000064FC: 923C0790
	v_add_u32_e32 v42, s61, v42                                // 000000006500: 6854543D
	v_sub_u32_e32 v240, v240, v42                              // 000000006504: 6BE055F0
	v_add_u32_e32 v240, s60, v240                              // 000000006508: 69E1E03C
	v_add_u32_e32 v241, 1, v240                                // 00000000650C: 69E3E081
	v_add_u32_e32 v242, 2, v240                                // 000000006510: 69E5E082
	v_add_u32_e32 v243, 3, v240                                // 000000006514: 69E7E083
	v_cmp_le_u32_e64 s[40:41], v240, v41                       // 000000006518: D0CB0028 000253F0
	v_add_u32_e32 v240, 64, v240                               // 000000006520: 69E1E0C0
	s_nop 0                                                    // 000000006524: BF800000
	v_cndmask_b32_e64 v128, v69, v128, s[40:41]                // 000000006528: D1000080 00A30145
	v_cmp_le_u32_e64 s[40:41], v241, v41                       // 000000006530: D0CB0028 000253F1
	v_add_u32_e32 v241, 64, v241                               // 000000006538: 69E3E2C0
	s_nop 0                                                    // 00000000653C: BF800000
	v_cndmask_b32_e64 v129, v69, v129, s[40:41]                // 000000006540: D1000081 00A30345
	v_cmp_le_u32_e64 s[40:41], v242, v41                       // 000000006548: D0CB0028 000253F2
	v_add_u32_e32 v242, 64, v242                               // 000000006550: 69E5E4C0
	s_nop 0                                                    // 000000006554: BF800000
	v_cndmask_b32_e64 v130, v69, v130, s[40:41]                // 000000006558: D1000082 00A30545
	v_cmp_le_u32_e64 s[40:41], v243, v41                       // 000000006560: D0CB0028 000253F3
	v_add_u32_e32 v243, 64, v243                               // 000000006568: 69E7E6C0
	s_nop 0                                                    // 00000000656C: BF800000
	v_cndmask_b32_e64 v131, v69, v131, s[40:41]                // 000000006570: D1000083 00A30745
	v_cmp_le_u32_e64 s[40:41], v240, v41                       // 000000006578: D0CB0028 000253F0
	v_add_u32_e32 v240, 64, v240                               // 000000006580: 69E1E0C0
	s_nop 0                                                    // 000000006584: BF800000
	v_cndmask_b32_e64 v132, v69, v132, s[40:41]                // 000000006588: D1000084 00A30945
	v_cmp_le_u32_e64 s[40:41], v241, v41                       // 000000006590: D0CB0028 000253F1
	v_add_u32_e32 v241, 64, v241                               // 000000006598: 69E3E2C0
	s_nop 0                                                    // 00000000659C: BF800000
	v_cndmask_b32_e64 v133, v69, v133, s[40:41]                // 0000000065A0: D1000085 00A30B45
	v_cmp_le_u32_e64 s[40:41], v242, v41                       // 0000000065A8: D0CB0028 000253F2
	v_add_u32_e32 v242, 64, v242                               // 0000000065B0: 69E5E4C0
	s_nop 0                                                    // 0000000065B4: BF800000
	v_cndmask_b32_e64 v134, v69, v134, s[40:41]                // 0000000065B8: D1000086 00A30D45
	v_cmp_le_u32_e64 s[40:41], v243, v41                       // 0000000065C0: D0CB0028 000253F3
	v_add_u32_e32 v243, 64, v243                               // 0000000065C8: 69E7E6C0
	s_nop 0                                                    // 0000000065CC: BF800000
	v_cndmask_b32_e64 v135, v69, v135, s[40:41]                // 0000000065D0: D1000087 00A30F45
	v_cmp_le_u32_e64 s[40:41], v240, v41                       // 0000000065D8: D0CB0028 000253F0
	v_add_u32_e32 v240, 64, v240                               // 0000000065E0: 69E1E0C0
	s_nop 0                                                    // 0000000065E4: BF800000
	v_cndmask_b32_e64 v136, v69, v136, s[40:41]                // 0000000065E8: D1000088 00A31145
	v_cmp_le_u32_e64 s[40:41], v241, v41                       // 0000000065F0: D0CB0028 000253F1
	v_add_u32_e32 v241, 64, v241                               // 0000000065F8: 69E3E2C0
	s_nop 0                                                    // 0000000065FC: BF800000
	v_cndmask_b32_e64 v137, v69, v137, s[40:41]                // 000000006600: D1000089 00A31345
	v_cmp_le_u32_e64 s[40:41], v242, v41                       // 000000006608: D0CB0028 000253F2
	v_add_u32_e32 v242, 64, v242                               // 000000006610: 69E5E4C0
	s_nop 0                                                    // 000000006614: BF800000
	v_cndmask_b32_e64 v138, v69, v138, s[40:41]                // 000000006618: D100008A 00A31545
	v_cmp_le_u32_e64 s[40:41], v243, v41                       // 000000006620: D0CB0028 000253F3
	v_add_u32_e32 v243, 64, v243                               // 000000006628: 69E7E6C0
	s_nop 0                                                    // 00000000662C: BF800000
	v_cndmask_b32_e64 v139, v69, v139, s[40:41]                // 000000006630: D100008B 00A31745
	v_cmp_le_u32_e64 s[40:41], v240, v41                       // 000000006638: D0CB0028 000253F0
	v_add_u32_e32 v240, 64, v240                               // 000000006640: 69E1E0C0
	s_nop 0                                                    // 000000006644: BF800000
	v_cndmask_b32_e64 v140, v69, v140, s[40:41]                // 000000006648: D100008C 00A31945
	v_cmp_le_u32_e64 s[40:41], v241, v41                       // 000000006650: D0CB0028 000253F1
	v_add_u32_e32 v241, 64, v241                               // 000000006658: 69E3E2C0
	s_nop 0                                                    // 00000000665C: BF800000
	v_cndmask_b32_e64 v141, v69, v141, s[40:41]                // 000000006660: D100008D 00A31B45
	v_cmp_le_u32_e64 s[40:41], v242, v41                       // 000000006668: D0CB0028 000253F2
	v_add_u32_e32 v242, 64, v242                               // 000000006670: 69E5E4C0
	s_nop 0                                                    // 000000006674: BF800000
	v_cndmask_b32_e64 v142, v69, v142, s[40:41]                // 000000006678: D100008E 00A31D45
	v_cmp_le_u32_e64 s[40:41], v243, v41                       // 000000006680: D0CB0028 000253F3
	v_add_u32_e32 v243, 64, v243                               // 000000006688: 69E7E6C0
	s_nop 0                                                    // 00000000668C: BF800000
	v_cndmask_b32_e64 v143, v69, v143, s[40:41]                // 000000006690: D100008F 00A31F45

0000000000006698 <label_1126>:
	s_add_u32 s90, s91, s90                                    // 000000006698: 805A5A5B
	v_mov_b32_e32 v62, v128                                    // 00000000669C: 7E7C0380
	v_max3_f32 v62, v128, v129, v62                            // 0000000066A0: D1D3003E 04FB0380
	v_max3_f32 v62, v130, v131, v62                            // 0000000066A8: D1D3003E 04FB0782
	v_max3_f32 v62, v132, v133, v62                            // 0000000066B0: D1D3003E 04FB0B84
	v_max3_f32 v62, v134, v135, v62                            // 0000000066B8: D1D3003E 04FB0F86
	v_max3_f32 v62, v136, v137, v62                            // 0000000066C0: D1D3003E 04FB1388
	v_max3_f32 v62, v138, v139, v62                            // 0000000066C8: D1D3003E 04FB178A
	v_max3_f32 v62, v140, v141, v62                            // 0000000066D0: D1D3003E 04FB1B8C
	v_max3_f32 v62, v142, v143, v62                            // 0000000066D8: D1D3003E 04FB1F8E
	ds_write_b32 v11, v62 offset:16896                         // 0000000066E0: D81A4200 00003E0B
	buffer_load_dwordx4 a[56:59], v32, s[16:19], 0 offen       // 0000000066E8: E05C1000 80843820
	v_mul_u32_u24_dpp v41, v20, v68 row_newbcast:1 row_mask:0xf bank_mask:0xf// 0000000066F0: 105288FA FF015114
	v_mul_u32_u24_dpp v42, v20, v68 row_newbcast:5 row_mask:0xf bank_mask:0xf// 0000000066F8: 105488FA FF015514
	v_mul_u32_u24_dpp v43, v20, v68 row_newbcast:9 row_mask:0xf bank_mask:0xf// 000000006700: 105688FA FF015914
	v_mul_u32_u24_dpp v44, v20, v68 row_newbcast:13 row_mask:0xf bank_mask:0xf// 000000006708: 105888FA FF015D14
	v_add_u32_e32 v37, v41, v7                                 // 000000006710: 684A0F29
	v_add_u32_e32 v38, v42, v7                                 // 000000006714: 684C0F2A
	v_add_u32_e32 v39, v43, v7                                 // 000000006718: 684E0F2B
	v_add_u32_e32 v40, v44, v7                                 // 00000000671C: 68500F2C
	v_mul_f32_e32 v224, v63, v224                              // 000000006720: 0BC1C13F
	v_mul_f32_e32 v225, v63, v225                              // 000000006724: 0BC3C33F
	v_mul_f32_e32 v226, v63, v226                              // 000000006728: 0BC5C53F
	v_mul_f32_e32 v227, v63, v227                              // 00000000672C: 0BC7C73F
	v_mul_f32_e32 v228, v63, v228                              // 000000006730: 0BC9C93F
	v_mul_f32_e32 v229, v63, v229                              // 000000006734: 0BCBCB3F
	v_mul_f32_e32 v230, v63, v230                              // 000000006738: 0BCDCD3F
	v_mul_f32_e32 v231, v63, v231                              // 00000000673C: 0BCFCF3F
	s_waitcnt lgkmcnt(0)                                       // 000000006740: BF8CC07F
	s_barrier                                                  // 000000006744: BF8A0000
	ds_read_b32 v80, v10 offset:16896                          // 000000006748: D86C4200 5000000A
	ds_read_b32 v81, v10 offset:16960                          // 000000006750: D86C4240 5100000A
	ds_read_b32 v82, v10 offset:17024                          // 000000006758: D86C4280 5200000A
	ds_read_b32 v83, v10 offset:17088                          // 000000006760: D86C42C0 5300000A
	ds_read_b32 v84, v10 offset:17152                          // 000000006768: D86C4300 5400000A
	ds_read_b32 v85, v10 offset:17216                          // 000000006770: D86C4340 5500000A
	ds_read_b32 v86, v10 offset:17280                          // 000000006778: D86C4380 5600000A
	ds_read_b32 v87, v10 offset:17344                          // 000000006780: D86C43C0 5700000A
	ds_read_b32 v88, v10 offset:17408                          // 000000006788: D86C4400 5800000A
	ds_read_b32 v89, v10 offset:17472                          // 000000006790: D86C4440 5900000A
	ds_read_b32 v90, v10 offset:17536                          // 000000006798: D86C4480 5A00000A
	ds_read_b32 v91, v10 offset:17600                          // 0000000067A0: D86C44C0 5B00000A
	ds_read_b32 v92, v10 offset:17664                          // 0000000067A8: D86C4500 5C00000A
	ds_read_b32 v93, v10 offset:17728                          // 0000000067B0: D86C4540 5D00000A
	ds_read_b32 v94, v10 offset:17792                          // 0000000067B8: D86C4580 5E00000A
	ds_read_b32 v95, v10 offset:17856                          // 0000000067C0: D86C45C0 5F00000A
	buffer_load_dwordx4 a[60:63], v32, s[16:19], 0 offen offset:1024// 0000000067C8: E05C1400 80843C20
	v_cvt_f32_i32_e32 v192, v192                               // 0000000067D0: 7F800BC0
	v_cvt_f32_i32_e32 v193, v193                               // 0000000067D4: 7F820BC1
	v_cvt_f32_i32_e32 v194, v194                               // 0000000067D8: 7F840BC2
	v_cvt_f32_i32_e32 v195, v195                               // 0000000067DC: 7F860BC3
	v_cvt_f32_i32_e32 v196, v196                               // 0000000067E0: 7F880BC4
	v_cvt_f32_i32_e32 v197, v197                               // 0000000067E4: 7F8A0BC5
	v_cvt_f32_i32_e32 v198, v198                               // 0000000067E8: 7F8C0BC6
	v_cvt_f32_i32_e32 v199, v199                               // 0000000067EC: 7F8E0BC7
	v_mul_f32_e32 v192, v58, v192                              // 0000000067F0: 0B81813A
	v_mul_f32_e32 v193, v58, v193                              // 0000000067F4: 0B83833A
	v_mul_f32_e32 v194, v58, v194                              // 0000000067F8: 0B85853A
	v_mul_f32_e32 v195, v58, v195                              // 0000000067FC: 0B87873A
	v_mul_f32_e32 v196, v58, v196                              // 000000006800: 0B89893A
	v_mul_f32_e32 v197, v58, v197                              // 000000006804: 0B8B8B3A
	v_mul_f32_e32 v198, v58, v198                              // 000000006808: 0B8D8D3A
	v_mul_f32_e32 v199, v58, v199                              // 00000000680C: 0B8F8F3A
	s_waitcnt lgkmcnt(0)                                       // 000000006810: BF8CC07F
	v_max3_f32 v62, v80, v81, v62                              // 000000006814: D1D3003E 04FAA350
	v_max3_f32 v62, v82, v83, v62                              // 00000000681C: D1D3003E 04FAA752
	v_max3_f32 v62, v84, v85, v62                              // 000000006824: D1D3003E 04FAAB54
	v_max3_f32 v62, v86, v87, v62                              // 00000000682C: D1D3003E 04FAAF56
	v_max3_f32 v62, v88, v89, v62                              // 000000006834: D1D3003E 04FAB358
	v_max3_f32 v62, v90, v91, v62                              // 00000000683C: D1D3003E 04FAB75A
	v_max3_f32 v62, v92, v93, v62                              // 000000006844: D1D3003E 04FABB5C
	v_max3_f32 v62, v94, v95, v62                              // 00000000684C: D1D3003E 04FABF5E
	buffer_load_dwordx4 a[96:99], v37, s[20:23], 0 offen       // 000000006854: E05C1000 80856025
	v_mov_b32_e32 v41, 0xff800000                              // 00000000685C: 7E5202FF FF800000
	v_cmp_eq_u32_e64 s[40:41], v41, v14                        // 000000006864: D0CA0028 00021D29
	s_nop 1                                                    // 00000000686C: BF800001
	v_max_f32_e32 v18, v62, v14                                // 000000006870: 16241D3E
	v_mul_f32_e32 v67, s64, v18                                // 000000006874: 0A862440
	v_fma_f32 v128, v128, s64, -v67                            // 000000006878: D1CB0080 850C8180
	v_fma_f32 v129, v129, s64, -v67                            // 000000006880: D1CB0081 850C8181
	v_fma_f32 v130, v130, s64, -v67                            // 000000006888: D1CB0082 850C8182
	v_fma_f32 v131, v131, s64, -v67                            // 000000006890: D1CB0083 850C8183
	v_fma_f32 v132, v132, s64, -v67                            // 000000006898: D1CB0084 850C8184
	v_fma_f32 v133, v133, s64, -v67                            // 0000000068A0: D1CB0085 850C8185
	v_fma_f32 v134, v134, s64, -v67                            // 0000000068A8: D1CB0086 850C8186
	v_fma_f32 v135, v135, s64, -v67                            // 0000000068B0: D1CB0087 850C8187
	v_fma_f32 v136, v136, s64, -v67                            // 0000000068B8: D1CB0088 850C8188
	v_fma_f32 v137, v137, s64, -v67                            // 0000000068C0: D1CB0089 850C8189
	v_fma_f32 v138, v138, s64, -v67                            // 0000000068C8: D1CB008A 850C818A
	v_fma_f32 v139, v139, s64, -v67                            // 0000000068D0: D1CB008B 850C818B
	v_fma_f32 v140, v140, s64, -v67                            // 0000000068D8: D1CB008C 850C818C
	v_fma_f32 v141, v141, s64, -v67                            // 0000000068E0: D1CB008D 850C818D
	v_fma_f32 v142, v142, s64, -v67                            // 0000000068E8: D1CB008E 850C818E
	v_fma_f32 v143, v143, s64, -v67                            // 0000000068F0: D1CB008F 850C818F
	buffer_load_dwordx4 a[100:103], v38, s[20:23], 0 offen     // 0000000068F8: E05C1000 80856426
	v_exp_f32_e32 v128, v128                                   // 000000006900: 7F004180
	v_exp_f32_e32 v129, v129                                   // 000000006904: 7F024181
	v_exp_f32_e32 v130, v130                                   // 000000006908: 7F044182
	v_exp_f32_e32 v131, v131                                   // 00000000690C: 7F064183
	v_exp_f32_e32 v132, v132                                   // 000000006910: 7F084184
	v_exp_f32_e32 v133, v133                                   // 000000006914: 7F0A4185
	v_exp_f32_e32 v134, v134                                   // 000000006918: 7F0C4186
	v_exp_f32_e32 v135, v135                                   // 00000000691C: 7F0E4187
	v_exp_f32_e32 v136, v136                                   // 000000006920: 7F104188
	v_exp_f32_e32 v137, v137                                   // 000000006924: 7F124189
	v_exp_f32_e32 v138, v138                                   // 000000006928: 7F14418A
	v_exp_f32_e32 v139, v139                                   // 00000000692C: 7F16418B
	v_exp_f32_e32 v140, v140                                   // 000000006930: 7F18418C
	v_exp_f32_e32 v141, v141                                   // 000000006934: 7F1A418D
	v_exp_f32_e32 v142, v142                                   // 000000006938: 7F1C418E
	v_exp_f32_e32 v143, v143                                   // 00000000693C: 7F1E418F
	buffer_load_dwordx4 a[104:107], v39, s[20:23], 0 offen     // 000000006940: E05C1000 80856827
	v_mul_f32_dpp v240, v252, v128 quad_perm:[0,0,0,0] row_mask:0xf bank_mask:0xf// 000000006948: 0BE100FA FF0000FC
	v_mul_f32_dpp v241, v252, v129 quad_perm:[1,1,1,1] row_mask:0xf bank_mask:0xf// 000000006950: 0BE302FA FF0055FC
	v_mul_f32_dpp v242, v252, v130 quad_perm:[2,2,2,2] row_mask:0xf bank_mask:0xf// 000000006958: 0BE504FA FF00AAFC
	v_mul_f32_dpp v243, v252, v131 quad_perm:[3,3,3,3] row_mask:0xf bank_mask:0xf// 000000006960: 0BE706FA FF00FFFC
	v_mul_f32_dpp v244, v253, v132 quad_perm:[0,0,0,0] row_mask:0xf bank_mask:0xf// 000000006968: 0BE908FA FF0000FD
	v_mul_f32_dpp v245, v253, v133 quad_perm:[1,1,1,1] row_mask:0xf bank_mask:0xf// 000000006970: 0BEB0AFA FF0055FD
	v_mul_f32_dpp v246, v253, v134 quad_perm:[2,2,2,2] row_mask:0xf bank_mask:0xf// 000000006978: 0BED0CFA FF00AAFD
	v_mul_f32_dpp v247, v253, v135 quad_perm:[3,3,3,3] row_mask:0xf bank_mask:0xf// 000000006980: 0BEF0EFA FF00FFFD
	v_mul_f32_dpp v248, v254, v136 quad_perm:[0,0,0,0] row_mask:0xf bank_mask:0xf// 000000006988: 0BF110FA FF0000FE
	v_mul_f32_dpp v249, v254, v137 quad_perm:[1,1,1,1] row_mask:0xf bank_mask:0xf// 000000006990: 0BF312FA FF0055FE
	v_mul_f32_dpp v250, v254, v138 quad_perm:[2,2,2,2] row_mask:0xf bank_mask:0xf// 000000006998: 0BF514FA FF00AAFE
	v_mul_f32_dpp v251, v254, v139 quad_perm:[3,3,3,3] row_mask:0xf bank_mask:0xf// 0000000069A0: 0BF716FA FF00FFFE
	v_mul_f32_dpp v252, v255, v140 quad_perm:[0,0,0,0] row_mask:0xf bank_mask:0xf// 0000000069A8: 0BF918FA FF0000FF
	v_mul_f32_dpp v253, v255, v141 quad_perm:[1,1,1,1] row_mask:0xf bank_mask:0xf// 0000000069B0: 0BFB1AFA FF0055FF
	v_mul_f32_dpp v254, v255, v142 quad_perm:[2,2,2,2] row_mask:0xf bank_mask:0xf// 0000000069B8: 0BFD1CFA FF00AAFF
	v_mul_f32_dpp v255, v255, v143 quad_perm:[3,3,3,3] row_mask:0xf bank_mask:0xf// 0000000069C0: 0BFF1EFA FF00FFFF
	v_mov_b32_e32 v62, 0x358637bd                              // 0000000069C8: 7E7C02FF 358637BD
	v_max3_f32 v62, |v240|, |v241|, v62                        // 0000000069D0: D1D3033E 04FBE3F0
	v_max3_f32 v62, |v242|, |v243|, v62                        // 0000000069D8: D1D3033E 04FBE7F2
	v_max3_f32 v62, |v244|, |v245|, v62                        // 0000000069E0: D1D3033E 04FBEBF4
	v_max3_f32 v62, |v246|, |v247|, v62                        // 0000000069E8: D1D3033E 04FBEFF6
	v_max3_f32 v62, |v248|, |v249|, v62                        // 0000000069F0: D1D3033E 04FBF3F8
	v_max3_f32 v62, |v250|, |v251|, v62                        // 0000000069F8: D1D3033E 04FBF7FA
	v_max3_f32 v62, |v252|, |v253|, v62                        // 000000006A00: D1D3033E 04FBFBFC
	v_max3_f32 v62, |v254|, |v255|, v62                        // 000000006A08: D1D3033E 04FBFFFE
	buffer_load_dwordx4 a[108:111], v40, s[20:23], 0 offen     // 000000006A10: E05C1000 80856C28
	ds_write_b32 v11, v62 offset:20992                         // 000000006A18: D81A5200 00003E0B
	v_sub_f32_e32 v63, v14, v18                                // 000000006A20: 047E250E
	v_cndmask_b32_e64 v63, v63, 0, s[40:41]                    // 000000006A24: D100003F 00A1013F
	v_mov_b32_e32 v14, v18                                     // 000000006A2C: 7E1C0312
	v_mul_f32_e32 v63, s64, v63                                // 000000006A30: 0A7E7E40
	v_exp_f32_e32 v63, v63                                     // 000000006A34: 7E7E413F
	s_waitcnt lgkmcnt(0)                                       // 000000006A38: BF8CC07F
	s_barrier                                                  // 000000006A3C: BF8A0000
	ds_read_b32 v80, v10 offset:20992                          // 000000006A40: D86C5200 5000000A
	ds_read_b32 v81, v10 offset:21056                          // 000000006A48: D86C5240 5100000A
	ds_read_b32 v82, v10 offset:21120                          // 000000006A50: D86C5280 5200000A
	ds_read_b32 v83, v10 offset:21184                          // 000000006A58: D86C52C0 5300000A
	ds_read_b32 v84, v10 offset:21248                          // 000000006A60: D86C5300 5400000A
	ds_read_b32 v85, v10 offset:21312                          // 000000006A68: D86C5340 5500000A
	ds_read_b32 v86, v10 offset:21376                          // 000000006A70: D86C5380 5600000A
	ds_read_b32 v87, v10 offset:21440                          // 000000006A78: D86C53C0 5700000A
	ds_read_b32 v88, v10 offset:21504                          // 000000006A80: D86C5400 5800000A
	ds_read_b32 v89, v10 offset:21568                          // 000000006A88: D86C5440 5900000A
	ds_read_b32 v90, v10 offset:21632                          // 000000006A90: D86C5480 5A00000A
	ds_read_b32 v91, v10 offset:21696                          // 000000006A98: D86C54C0 5B00000A
	ds_read_b32 v92, v10 offset:21760                          // 000000006AA0: D86C5500 5C00000A
	ds_read_b32 v93, v10 offset:21824                          // 000000006AA8: D86C5540 5D00000A
	ds_read_b32 v94, v10 offset:21888                          // 000000006AB0: D86C5580 5E00000A
	ds_read_b32 v95, v10 offset:21952                          // 000000006AB8: D86C55C0 5F00000A
	v_mul_f32_e32 v47, v63, v47                                // 000000006AC0: 0A5E5F3F
	v_mov_b32_e32 v18, v128                                    // 000000006AC4: 7E240380
	v_add_f32_e32 v18, v129, v18                               // 000000006AC8: 02242581
	v_add_f32_e32 v18, v130, v18                               // 000000006ACC: 02242582
	v_add_f32_e32 v18, v131, v18                               // 000000006AD0: 02242583
	v_add_f32_e32 v18, v132, v18                               // 000000006AD4: 02242584
	v_add_f32_e32 v18, v133, v18                               // 000000006AD8: 02242585
	v_add_f32_e32 v18, v134, v18                               // 000000006ADC: 02242586
	v_add_f32_e32 v18, v135, v18                               // 000000006AE0: 02242587
	v_add_f32_e32 v18, v136, v18                               // 000000006AE4: 02242588
	v_add_f32_e32 v18, v137, v18                               // 000000006AE8: 02242589
	v_add_f32_e32 v18, v138, v18                               // 000000006AEC: 0224258A
	v_add_f32_e32 v18, v139, v18                               // 000000006AF0: 0224258B
	v_add_f32_e32 v18, v140, v18                               // 000000006AF4: 0224258C
	v_add_f32_e32 v18, v141, v18                               // 000000006AF8: 0224258D
	v_add_f32_e32 v18, v142, v18                               // 000000006AFC: 0224258E
	v_add_f32_e32 v18, v143, v18                               // 000000006B00: 0224258F
	v_add_f32_e32 v47, v18, v47                                // 000000006B04: 025E5F12
	s_waitcnt lgkmcnt(0)                                       // 000000006B08: BF8CC07F
	v_max3_f32 v62, |v80|, |v81|, v62                          // 000000006B0C: D1D3033E 04FAA350
	v_max3_f32 v62, |v82|, |v83|, v62                          // 000000006B14: D1D3033E 04FAA752
	v_max3_f32 v62, |v84|, |v85|, v62                          // 000000006B1C: D1D3033E 04FAAB54
	v_max3_f32 v62, |v86|, |v87|, v62                          // 000000006B24: D1D3033E 04FAAF56
	v_max3_f32 v62, |v88|, |v89|, v62                          // 000000006B2C: D1D3033E 04FAB358
	v_max3_f32 v62, |v90|, |v91|, v62                          // 000000006B34: D1D3033E 04FAB75A
	v_max3_f32 v62, |v92|, |v93|, v62                          // 000000006B3C: D1D3033E 04FABB5C
	v_max3_f32 v62, |v94|, |v95|, v62                          // 000000006B44: D1D3033E 04FABF5E
	s_nop 2                                                    // 000000006B4C: BF800002
	v_rcp_f32_e32 v62, v62                                     // 000000006B50: 7E7C453E
	s_nop 1                                                    // 000000006B54: BF800001
	v_mul_f32_e32 v62, 0x42fe0000, v62                         // 000000006B58: 0A7C7CFF 42FE0000
	v_mul_f32_e32 v128, v62, v240                              // 000000006B60: 0B01E13E
	v_mul_f32_e32 v129, v62, v241                              // 000000006B64: 0B03E33E
	v_mul_f32_e32 v130, v62, v242                              // 000000006B68: 0B05E53E
	v_mul_f32_e32 v131, v62, v243                              // 000000006B6C: 0B07E73E
	v_mul_f32_e32 v132, v62, v244                              // 000000006B70: 0B09E93E
	v_mul_f32_e32 v133, v62, v245                              // 000000006B74: 0B0BEB3E
	v_mul_f32_e32 v134, v62, v246                              // 000000006B78: 0B0DED3E
	v_mul_f32_e32 v135, v62, v247                              // 000000006B7C: 0B0FEF3E
	v_mul_f32_e32 v136, v62, v248                              // 000000006B80: 0B11F13E
	v_mul_f32_e32 v137, v62, v249                              // 000000006B84: 0B13F33E
	v_mul_f32_e32 v138, v62, v250                              // 000000006B88: 0B15F53E
	v_mul_f32_e32 v139, v62, v251                              // 000000006B8C: 0B17F73E
	v_mul_f32_e32 v140, v62, v252                              // 000000006B90: 0B19F93E
	v_mul_f32_e32 v141, v62, v253                              // 000000006B94: 0B1BFB3E
	v_mul_f32_e32 v142, v62, v254                              // 000000006B98: 0B1DFD3E
	v_mul_f32_e32 v143, v62, v255                              // 000000006B9C: 0B1FFF3E
	v_cvt_i32_f32_e32 v128, v128                               // 000000006BA0: 7F001180
	v_cvt_i32_f32_e32 v129, v129                               // 000000006BA4: 7F021181
	v_cvt_i32_f32_e32 v130, v130                               // 000000006BA8: 7F041182
	v_cvt_i32_f32_e32 v131, v131                               // 000000006BAC: 7F061183
	v_cvt_i32_f32_e32 v132, v132                               // 000000006BB0: 7F081184
	v_cvt_i32_f32_e32 v133, v133                               // 000000006BB4: 7F0A1185
	v_cvt_i32_f32_e32 v134, v134                               // 000000006BB8: 7F0C1186
	v_cvt_i32_f32_e32 v135, v135                               // 000000006BBC: 7F0E1187
	v_cvt_i32_f32_e32 v136, v136                               // 000000006BC0: 7F101188
	v_cvt_i32_f32_e32 v137, v137                               // 000000006BC4: 7F121189
	v_cvt_i32_f32_e32 v138, v138                               // 000000006BC8: 7F14118A
	v_cvt_i32_f32_e32 v139, v139                               // 000000006BCC: 7F16118B
	v_cvt_i32_f32_e32 v140, v140                               // 000000006BD0: 7F18118C
	v_cvt_i32_f32_e32 v141, v141                               // 000000006BD4: 7F1A118D
	v_cvt_i32_f32_e32 v142, v142                               // 000000006BD8: 7F1C118E
	v_cvt_i32_f32_e32 v143, v143                               // 000000006BDC: 7F1E118F
	v_perm_b32 v128, v129, v128, s53                           // 000000006BE0: D1ED0080 00D70181
	v_perm_b32 v128, v130, v128, s54                           // 000000006BE8: D1ED0080 00DB0182
	v_perm_b32 v128, v131, v128, s55                           // 000000006BF0: D1ED0080 00DF0183
	v_perm_b32 v129, v133, v132, s53                           // 000000006BF8: D1ED0081 00D70985
	v_perm_b32 v129, v134, v129, s54                           // 000000006C00: D1ED0081 00DB0386
	v_perm_b32 v129, v135, v129, s55                           // 000000006C08: D1ED0081 00DF0387
	v_perm_b32 v130, v137, v136, s53                           // 000000006C10: D1ED0082 00D71189
	v_perm_b32 v130, v138, v130, s54                           // 000000006C18: D1ED0082 00DB058A
	v_perm_b32 v130, v139, v130, s55                           // 000000006C20: D1ED0082 00DF058B
	v_perm_b32 v131, v141, v140, s53                           // 000000006C28: D1ED0083 00D7198D
	v_perm_b32 v131, v142, v131, s54                           // 000000006C30: D1ED0083 00DB078E
	v_perm_b32 v131, v143, v131, s55                           // 000000006C38: D1ED0083 00DF078F
	ds_write_b32 v13, v128 offset:25088                        // 000000006C40: D81A6200 0000800D
	ds_write_b32 v13, v129 offset:26112                        // 000000006C48: D81A6600 0000810D
	ds_write_b32 v13, v130 offset:27136                        // 000000006C50: D81A6A00 0000820D
	ds_write_b32 v13, v131 offset:28160                        // 000000006C58: D81A6E00 0000830D
	v_add_f32_e32 v224, v224, v192                             // 000000006C60: 03C181E0
	v_add_f32_e32 v225, v225, v193                             // 000000006C64: 03C383E1
	v_add_f32_e32 v226, v226, v194                             // 000000006C68: 03C585E2
	v_add_f32_e32 v227, v227, v195                             // 000000006C6C: 03C787E3
	v_add_f32_e32 v228, v228, v196                             // 000000006C70: 03C989E4
	v_add_f32_e32 v229, v229, v197                             // 000000006C74: 03CB8BE5
	v_add_f32_e32 v230, v230, v198                             // 000000006C78: 03CD8DE6
	v_add_f32_e32 v231, v231, v199                             // 000000006C7C: 03CF8FE7
	v_rcp_f32_e32 v58, v62                                     // 000000006C80: 7E74453E
	s_waitcnt lgkmcnt(0)                                       // 000000006C84: BF8CC07F
	s_barrier                                                  // 000000006C88: BF8A0000
	ds_read_b64 v[128:129], v12 offset:25088                   // 000000006C8C: D8EC6200 8000000C
	ds_read_b64 v[130:131], v12 offset:25216                   // 000000006C94: D8EC6280 8200000C
	ds_read_b64 v[132:133], v12 offset:26112                   // 000000006C9C: D8EC6600 8400000C
	ds_read_b64 v[134:135], v12 offset:26240                   // 000000006CA4: D8EC6680 8600000C
	ds_read_b64 v[136:137], v12 offset:27136                   // 000000006CAC: D8EC6A00 8800000C
	ds_read_b64 v[138:139], v12 offset:27264                   // 000000006CB4: D8EC6A80 8A00000C
	ds_read_b64 v[140:141], v12 offset:28160                   // 000000006CBC: D8EC6E00 8C00000C
	ds_read_b64 v[142:143], v12 offset:28288                   // 000000006CC4: D8EC6E80 8E00000C
	s_waitcnt vmcnt(15)                                        // 000000006CCC: BF8C0F7F
	s_waitcnt lgkmcnt(7)                                       // 000000006CD0: BF8CC77F
	v_mfma_i32_16x16x32_i8 v[192:195], a[64:65], v[128:129], 0 // 000000006CD4: D3D700C0 0A030140
	s_waitcnt lgkmcnt(6)                                       // 000000006CDC: BF8CC67F
	v_mfma_i32_16x16x32_i8 v[192:195], a[66:67], v[130:131], v[192:195]// 000000006CE0: D3D700C0 0F030542
	buffer_load_dwordx4 a[112:115], v37, s[20:23], 0 offen offset:1024// 000000006CE8: E05C1400 80857025
	s_waitcnt lgkmcnt(5)                                       // 000000006CF0: BF8CC57F
	v_mfma_i32_16x16x32_i8 v[192:195], a[68:69], v[132:133], v[192:195]// 000000006CF4: D3D700C0 0F030944
	s_waitcnt lgkmcnt(4)                                       // 000000006CFC: BF8CC47F
	v_mfma_i32_16x16x32_i8 v[192:195], a[70:71], v[134:135], v[192:195]// 000000006D00: D3D700C0 0F030D46
	s_waitcnt lgkmcnt(3)                                       // 000000006D08: BF8CC37F
	v_mfma_i32_16x16x32_i8 v[192:195], a[72:73], v[136:137], v[192:195]// 000000006D0C: D3D700C0 0F031148
	s_waitcnt lgkmcnt(2)                                       // 000000006D14: BF8CC27F
	v_mfma_i32_16x16x32_i8 v[192:195], a[74:75], v[138:139], v[192:195]// 000000006D18: D3D700C0 0F03154A
	buffer_load_dwordx4 a[116:119], v38, s[20:23], 0 offen offset:1024// 000000006D20: E05C1400 80857426
	s_waitcnt lgkmcnt(1)                                       // 000000006D28: BF8CC17F
	v_mfma_i32_16x16x32_i8 v[192:195], a[76:77], v[140:141], v[192:195]// 000000006D2C: D3D700C0 0F03194C
	s_waitcnt lgkmcnt(0)                                       // 000000006D34: BF8CC07F
	v_mfma_i32_16x16x32_i8 v[192:195], a[78:79], v[142:143], v[192:195]// 000000006D38: D3D700C0 0F031D4E
	v_mfma_i32_16x16x32_i8 v[196:199], a[80:81], v[128:129], 0 // 000000006D40: D3D700C4 0A030150
	v_mfma_i32_16x16x32_i8 v[196:199], a[82:83], v[130:131], v[196:199]// 000000006D48: D3D700C4 0F130552
	buffer_load_dwordx4 a[120:123], v39, s[20:23], 0 offen offset:1024// 000000006D50: E05C1400 80857827
	v_mfma_i32_16x16x32_i8 v[196:199], a[84:85], v[132:133], v[196:199]// 000000006D58: D3D700C4 0F130954
	v_mfma_i32_16x16x32_i8 v[196:199], a[86:87], v[134:135], v[196:199]// 000000006D60: D3D700C4 0F130D56
	v_mfma_i32_16x16x32_i8 v[196:199], a[88:89], v[136:137], v[196:199]// 000000006D68: D3D700C4 0F131158
	v_mfma_i32_16x16x32_i8 v[196:199], a[90:91], v[138:139], v[196:199]// 000000006D70: D3D700C4 0F13155A
	buffer_load_dwordx4 a[124:127], v40, s[20:23], 0 offen offset:1024// 000000006D78: E05C1400 80857C28
	v_mfma_i32_16x16x32_i8 v[196:199], a[92:93], v[140:141], v[196:199]// 000000006D80: D3D700C4 0F13195C
	s_lshr_b32 s57, s70, 4                                     // 000000006D88: 8F398446
	s_add_u32 s57, 48, s57                                     // 000000006D8C: 803939B0
	v_mfma_i32_16x16x32_i8 v[196:199], a[94:95], v[142:143], v[196:199]// 000000006D90: D3D700C4 0F131D5E
	s_cmp_ge_u32 s57, s73                                      // 000000006D98: BF094939
	s_cselect_b32 s56, 0, s56                                  // 000000006D9C: 85383880
	v_add_u32_e32 v1, s56, v1                                  // 000000006DA0: 68020238
	s_addk_i32 s70, 0x100                                      // 000000006DA4: B7460100
	s_cmp_lt_i32 s70, s71                                      // 000000006DA8: BF044746
	s_cbranch_scc0 label_15E1                                  // 000000006DAC: BF8402F5
	s_waitcnt vmcnt(8) lgkmcnt(0)                              // 000000006DB0: BF8C0078
	v_mul_u32_u24_dpp v41, v19, v68 row_newbcast:0 row_mask:0xf bank_mask:0xf// 000000006DB4: 105288FA FF015013
	v_mul_u32_u24_dpp v42, v19, v68 row_newbcast:4 row_mask:0xf bank_mask:0xf// 000000006DBC: 105488FA FF015413
	v_mul_u32_u24_dpp v43, v19, v68 row_newbcast:8 row_mask:0xf bank_mask:0xf// 000000006DC4: 105688FA FF015813
	v_mul_u32_u24_dpp v44, v19, v68 row_newbcast:12 row_mask:0xf bank_mask:0xf// 000000006DCC: 105888FA FF015C13
	v_add_u32_e32 v25, v41, v6                                 // 000000006DD4: 68320D29
	v_add_u32_e32 v26, v42, v6                                 // 000000006DD8: 68340D2A
	v_add_u32_e32 v27, v43, v6                                 // 000000006DDC: 68360D2B
	v_add_u32_e32 v28, v44, v6                                 // 000000006DE0: 68380D2C
	v_mul_u32_u24_dpp v41, v19, v78 quad_perm:[0,0,0,0] row_mask:0xf bank_mask:0xf// 000000006DE4: 10529CFA FF000013
	v_add_u32_e32 v2, v41, v74                                 // 000000006DEC: 68049529
	v_mul_u32_u24_dpp v41, v19, v78 quad_perm:[0,0,0,0] row_mask:0xf bank_mask:0xf// 000000006DF0: 10529CFA FF000013
	v_add_u32_e32 v70, v41, v75                                // 000000006DF8: 688C9729
	v_mfma_i32_16x16x32_i8 v[128:131], a[32:33], v[96:97], 0   // 000000006DFC: D3D70080 0A02C120
	v_mfma_i32_16x16x32_i8 v[128:131], a[34:35], v[98:99], v[128:131]// 000000006E04: D3D70080 0E02C522
	buffer_load_dwordx4 a[0:3], v25, s[16:19], 0 offen         // 000000006E0C: E05C1000 80840019
	v_mfma_i32_16x16x32_i8 v[128:131], a[36:37], v[100:101], v[128:131]// 000000006E14: D3D70080 0E02C924
	v_mfma_i32_16x16x32_i8 v[128:131], a[38:39], v[102:103], v[128:131]// 000000006E1C: D3D70080 0E02CD26
	buffer_load_dword v20, v1, s[24:27], 0 offen               // 000000006E24: E0501000 80061401
	v_mfma_i32_16x16x32_i8 v[132:135], a[40:41], v[96:97], 0   // 000000006E2C: D3D70084 0A02C128
	v_mfma_i32_16x16x32_i8 v[132:135], a[42:43], v[98:99], v[132:135]// 000000006E34: D3D70084 0E12C52A
	buffer_load_dwordx4 a[4:7], v25, s[16:19], 0 offen offset:1024// 000000006E3C: E05C1400 80840419
	v_mfma_i32_16x16x32_i8 v[132:135], a[44:45], v[100:101], v[132:135]// 000000006E44: D3D70084 0E12C92C
	v_mfma_i32_16x16x32_i8 v[132:135], a[46:47], v[102:103], v[132:135]// 000000006E4C: D3D70084 0E12CD2E
	v_mfma_i32_16x16x32_i8 v[136:139], a[48:49], v[96:97], 0   // 000000006E54: D3D70088 0A02C130
	v_mfma_i32_16x16x32_i8 v[136:139], a[50:51], v[98:99], v[136:139]// 000000006E5C: D3D70088 0E22C532
	buffer_load_dwordx4 a[8:11], v26, s[16:19], 0 offen        // 000000006E64: E05C1000 8084081A
	v_mfma_i32_16x16x32_i8 v[136:139], a[52:53], v[100:101], v[136:139]// 000000006E6C: D3D70088 0E22C934
	v_mfma_i32_16x16x32_i8 v[136:139], a[54:55], v[102:103], v[136:139]// 000000006E74: D3D70088 0E22CD36
	v_mfma_i32_16x16x32_i8 v[140:143], a[56:57], v[96:97], 0   // 000000006E7C: D3D7008C 0A02C138
	v_mfma_i32_16x16x32_i8 v[140:143], a[58:59], v[98:99], v[140:143]// 000000006E84: D3D7008C 0E32C53A
	buffer_load_dwordx4 a[12:15], v26, s[16:19], 0 offen offset:1024// 000000006E8C: E05C1400 80840C1A
	v_mfma_i32_16x16x32_i8 v[140:143], a[60:61], v[100:101], v[140:143]// 000000006E94: D3D7008C 0E32C93C
	v_mfma_i32_16x16x32_i8 v[140:143], a[62:63], v[102:103], v[140:143]// 000000006E9C: D3D7008C 0E32CD3E
	buffer_load_dword v52, v2, s[32:35], 0 offen               // 000000006EA4: E0501000 80083402
	v_mov_b32_dpp v41, v53 row_shr:4 row_mask:0xf bank_mask:0xf// 000000006EAC: 7E5202FA FF011435
	v_mov_b32_dpp v42, v53 row_shl:4 row_mask:0xf bank_mask:0xf// 000000006EB4: 7E5402FA FF010435
	v_cndmask_b32_e64 v248, v53, v41, s[44:45]                 // 000000006EBC: D10000F8 00B25335
	v_cndmask_b32_e64 v249, v42, v53, s[44:45]                 // 000000006EC4: D10000F9 00B26B2A
	v_mov_b32_dpp v41, v248 row_shr:8 row_mask:0xf bank_mask:0xf// 000000006ECC: 7E5202FA FF0118F8
	v_mov_b32_dpp v42, v248 row_shl:8 row_mask:0xf bank_mask:0xf// 000000006ED4: 7E5402FA FF0108F8
	v_mov_b32_dpp v43, v249 row_shr:8 row_mask:0xf bank_mask:0xf// 000000006EDC: 7E5602FA FF0118F9
	v_mov_b32_dpp v44, v249 row_shl:8 row_mask:0xf bank_mask:0xf// 000000006EE4: 7E5802FA FF0108F9
	v_mov_b32_e32 v45, v248                                    // 000000006EEC: 7E5A03F8
	v_mov_b32_e32 v46, v249                                    // 000000006EF0: 7E5C03F9
	v_cndmask_b32_e64 v248, v45, v41, s[42:43]                 // 000000006EF4: D10000F8 00AA532D
	v_cndmask_b32_e64 v250, v45, v42, s[78:79]                 // 000000006EFC: D10000FA 013A552D
	v_cndmask_b32_e64 v249, v46, v43, s[42:43]                 // 000000006F04: D10000F9 00AA572E
	v_cndmask_b32_e64 v251, v46, v44, s[78:79]                 // 000000006F0C: D10000FB 013A592E
	v_mov_b32_dpp v41, v73 row_shr:4 row_mask:0xf bank_mask:0xf// 000000006F14: 7E5202FA FF011449
	v_mov_b32_dpp v42, v73 row_shl:4 row_mask:0xf bank_mask:0xf// 000000006F1C: 7E5402FA FF010449
	v_cndmask_b32_e64 v252, v73, v41, s[44:45]                 // 000000006F24: D10000FC 00B25349
	v_cndmask_b32_e64 v253, v42, v73, s[44:45]                 // 000000006F2C: D10000FD 00B2932A
	v_mov_b32_dpp v41, v252 row_shr:8 row_mask:0xf bank_mask:0xf// 000000006F34: 7E5202FA FF0118FC
	v_mov_b32_dpp v42, v252 row_shl:8 row_mask:0xf bank_mask:0xf// 000000006F3C: 7E5402FA FF0108FC
	v_mov_b32_dpp v43, v253 row_shr:8 row_mask:0xf bank_mask:0xf// 000000006F44: 7E5602FA FF0118FD
	v_mov_b32_dpp v44, v253 row_shl:8 row_mask:0xf bank_mask:0xf// 000000006F4C: 7E5802FA FF0108FD
	v_mov_b32_e32 v45, v252                                    // 000000006F54: 7E5A03FC
	v_mov_b32_e32 v46, v253                                    // 000000006F58: 7E5C03FD
	v_cndmask_b32_e64 v252, v45, v41, s[42:43]                 // 000000006F5C: D10000FC 00AA532D
	v_cndmask_b32_e64 v254, v45, v42, s[78:79]                 // 000000006F64: D10000FE 013A552D
	v_cndmask_b32_e64 v253, v46, v43, s[42:43]                 // 000000006F6C: D10000FD 00AA572E
	v_cndmask_b32_e64 v255, v46, v44, s[78:79]                 // 000000006F74: D10000FF 013A592E
	buffer_load_dword v72, v70, s[36:39], 0 offen              // 000000006F7C: E0501000 80094846
	v_cvt_f32_i32_e32 v128, v128                               // 000000006F84: 7F000B80
	v_cvt_f32_i32_e32 v129, v129                               // 000000006F88: 7F020B81
	v_cvt_f32_i32_e32 v130, v130                               // 000000006F8C: 7F040B82
	v_cvt_f32_i32_e32 v131, v131                               // 000000006F90: 7F060B83
	v_cvt_f32_i32_e32 v132, v132                               // 000000006F94: 7F080B84
	v_cvt_f32_i32_e32 v133, v133                               // 000000006F98: 7F0A0B85
	v_cvt_f32_i32_e32 v134, v134                               // 000000006F9C: 7F0C0B86
	v_cvt_f32_i32_e32 v135, v135                               // 000000006FA0: 7F0E0B87
	v_cvt_f32_i32_e32 v136, v136                               // 000000006FA4: 7F100B88
	v_cvt_f32_i32_e32 v137, v137                               // 000000006FA8: 7F120B89
	v_cvt_f32_i32_e32 v138, v138                               // 000000006FAC: 7F140B8A
	v_cvt_f32_i32_e32 v139, v139                               // 000000006FB0: 7F160B8B
	v_cvt_f32_i32_e32 v140, v140                               // 000000006FB4: 7F180B8C
	v_cvt_f32_i32_e32 v141, v141                               // 000000006FB8: 7F1A0B8D
	v_cvt_f32_i32_e32 v142, v142                               // 000000006FBC: 7F1C0B8E
	v_cvt_f32_i32_e32 v143, v143                               // 000000006FC0: 7F1E0B8F
	v_mul_f32_e32 v128, v54, v128                              // 000000006FC4: 0B010136
	v_mul_f32_e32 v129, v54, v129                              // 000000006FC8: 0B030336
	v_mul_f32_e32 v130, v54, v130                              // 000000006FCC: 0B050536
	v_mul_f32_e32 v131, v54, v131                              // 000000006FD0: 0B070736
	v_mul_f32_e32 v132, v54, v132                              // 000000006FD4: 0B090936
	v_mul_f32_e32 v133, v54, v133                              // 000000006FD8: 0B0B0B36
	v_mul_f32_e32 v134, v54, v134                              // 000000006FDC: 0B0D0D36
	v_mul_f32_e32 v135, v54, v135                              // 000000006FE0: 0B0F0F36
	v_mul_f32_e32 v136, v54, v136                              // 000000006FE4: 0B111136
	v_mul_f32_e32 v137, v54, v137                              // 000000006FE8: 0B131336
	v_mul_f32_e32 v138, v54, v138                              // 000000006FEC: 0B151536
	v_mul_f32_e32 v139, v54, v139                              // 000000006FF0: 0B171736
	v_mul_f32_e32 v140, v54, v140                              // 000000006FF4: 0B191936
	v_mul_f32_e32 v141, v54, v141                              // 000000006FF8: 0B1B1B36
	v_mul_f32_e32 v142, v54, v142                              // 000000006FFC: 0B1D1D36
	v_mul_f32_e32 v143, v54, v143                              // 000000007000: 0B1F1F36
	buffer_load_dwordx4 a[16:19], v27, s[16:19], 0 offen       // 000000007004: E05C1000 8084101B
	v_mul_f32_dpp v128, v248, v128 quad_perm:[0,0,0,0] row_mask:0xf bank_mask:0xf// 00000000700C: 0B0100FA FF0000F8
	v_mul_f32_dpp v129, v248, v129 quad_perm:[1,1,1,1] row_mask:0xf bank_mask:0xf// 000000007014: 0B0302FA FF0055F8
	v_mul_f32_dpp v130, v248, v130 quad_perm:[2,2,2,2] row_mask:0xf bank_mask:0xf// 00000000701C: 0B0504FA FF00AAF8
	v_mul_f32_dpp v131, v248, v131 quad_perm:[3,3,3,3] row_mask:0xf bank_mask:0xf// 000000007024: 0B0706FA FF00FFF8
	v_mul_f32_dpp v132, v249, v132 quad_perm:[0,0,0,0] row_mask:0xf bank_mask:0xf// 00000000702C: 0B0908FA FF0000F9
	v_mul_f32_dpp v133, v249, v133 quad_perm:[1,1,1,1] row_mask:0xf bank_mask:0xf// 000000007034: 0B0B0AFA FF0055F9
	v_mul_f32_dpp v134, v249, v134 quad_perm:[2,2,2,2] row_mask:0xf bank_mask:0xf// 00000000703C: 0B0D0CFA FF00AAF9
	v_mul_f32_dpp v135, v249, v135 quad_perm:[3,3,3,3] row_mask:0xf bank_mask:0xf// 000000007044: 0B0F0EFA FF00FFF9
	v_mul_f32_dpp v136, v250, v136 quad_perm:[0,0,0,0] row_mask:0xf bank_mask:0xf// 00000000704C: 0B1110FA FF0000FA
	v_mul_f32_dpp v137, v250, v137 quad_perm:[1,1,1,1] row_mask:0xf bank_mask:0xf// 000000007054: 0B1312FA FF0055FA
	v_mul_f32_dpp v138, v250, v138 quad_perm:[2,2,2,2] row_mask:0xf bank_mask:0xf// 00000000705C: 0B1514FA FF00AAFA
	v_mul_f32_dpp v139, v250, v139 quad_perm:[3,3,3,3] row_mask:0xf bank_mask:0xf// 000000007064: 0B1716FA FF00FFFA
	v_mul_f32_dpp v140, v251, v140 quad_perm:[0,0,0,0] row_mask:0xf bank_mask:0xf// 00000000706C: 0B1918FA FF0000FB
	v_mul_f32_dpp v141, v251, v141 quad_perm:[1,1,1,1] row_mask:0xf bank_mask:0xf// 000000007074: 0B1B1AFA FF0055FB
	v_mul_f32_dpp v142, v251, v142 quad_perm:[2,2,2,2] row_mask:0xf bank_mask:0xf// 00000000707C: 0B1D1CFA FF00AAFB
	v_mul_f32_dpp v143, v251, v143 quad_perm:[3,3,3,3] row_mask:0xf bank_mask:0xf// 000000007084: 0B1F1EFA FF00FFFB
	buffer_load_dwordx4 a[20:23], v27, s[16:19], 0 offen offset:1024// 00000000708C: E05C1400 8084141B
	s_cmp_le_i32 s90, s89                                      // 000000007094: BF05595A
	s_cbranch_scc1 label_141A                                  // 000000007098: BF850073
	v_mov_b32_e32 v69, 0xff800000                              // 00000000709C: 7E8A02FF FF800000
	s_mov_b32 s60, s90                                         // 0000000070A4: BEBC005A
	s_add_u32 s61, s89, 0xff                                   // 0000000070A8: 803DFF59 000000FF
	v_mov_b32_e32 v41, s61                                     // 0000000070B0: 7E52023D
	v_lshrrev_b32_e32 v240, 4, v0                              // 0000000070B4: 21E00084
	v_mul_i32_i24_e32 v240, 4, v240                            // 0000000070B8: 0DE1E084
	v_add_u32_e32 v240, s60, v240                              // 0000000070BC: 69E1E03C
	v_and_b32_e32 v42, 15, v0                                  // 0000000070C0: 2654008F
	v_lshrrev_b32_e32 v42, 3, v42                              // 0000000070C4: 20545483
	s_mov_b32 s61, 0                                           // 0000000070C8: BEBD0080
	s_mul_i32 s60, 16, s7                                      // 0000000070CC: 923C0790
	v_add_u32_e32 v42, s61, v42                                // 0000000070D0: 6854543D
	v_sub_u32_e32 v240, v240, v42                              // 0000000070D4: 6BE055F0
	v_add_u32_e32 v240, s60, v240                              // 0000000070D8: 69E1E03C
	v_add_u32_e32 v241, 1, v240                                // 0000000070DC: 69E3E081
	v_add_u32_e32 v242, 2, v240                                // 0000000070E0: 69E5E082
	v_add_u32_e32 v243, 3, v240                                // 0000000070E4: 69E7E083
	v_cmp_le_u32_e64 s[40:41], v240, v41                       // 0000000070E8: D0CB0028 000253F0
	v_add_u32_e32 v240, 64, v240                               // 0000000070F0: 69E1E0C0
	s_nop 0                                                    // 0000000070F4: BF800000
	v_cndmask_b32_e64 v128, v69, v128, s[40:41]                // 0000000070F8: D1000080 00A30145
	v_cmp_le_u32_e64 s[40:41], v241, v41                       // 000000007100: D0CB0028 000253F1
	v_add_u32_e32 v241, 64, v241                               // 000000007108: 69E3E2C0
	s_nop 0                                                    // 00000000710C: BF800000
	v_cndmask_b32_e64 v129, v69, v129, s[40:41]                // 000000007110: D1000081 00A30345
	v_cmp_le_u32_e64 s[40:41], v242, v41                       // 000000007118: D0CB0028 000253F2
	v_add_u32_e32 v242, 64, v242                               // 000000007120: 69E5E4C0
	s_nop 0                                                    // 000000007124: BF800000
	v_cndmask_b32_e64 v130, v69, v130, s[40:41]                // 000000007128: D1000082 00A30545
	v_cmp_le_u32_e64 s[40:41], v243, v41                       // 000000007130: D0CB0028 000253F3
	v_add_u32_e32 v243, 64, v243                               // 000000007138: 69E7E6C0
	s_nop 0                                                    // 00000000713C: BF800000
	v_cndmask_b32_e64 v131, v69, v131, s[40:41]                // 000000007140: D1000083 00A30745
	v_cmp_le_u32_e64 s[40:41], v240, v41                       // 000000007148: D0CB0028 000253F0
	v_add_u32_e32 v240, 64, v240                               // 000000007150: 69E1E0C0
	s_nop 0                                                    // 000000007154: BF800000
	v_cndmask_b32_e64 v132, v69, v132, s[40:41]                // 000000007158: D1000084 00A30945
	v_cmp_le_u32_e64 s[40:41], v241, v41                       // 000000007160: D0CB0028 000253F1
	v_add_u32_e32 v241, 64, v241                               // 000000007168: 69E3E2C0
	s_nop 0                                                    // 00000000716C: BF800000
	v_cndmask_b32_e64 v133, v69, v133, s[40:41]                // 000000007170: D1000085 00A30B45
	v_cmp_le_u32_e64 s[40:41], v242, v41                       // 000000007178: D0CB0028 000253F2
	v_add_u32_e32 v242, 64, v242                               // 000000007180: 69E5E4C0
	s_nop 0                                                    // 000000007184: BF800000
	v_cndmask_b32_e64 v134, v69, v134, s[40:41]                // 000000007188: D1000086 00A30D45
	v_cmp_le_u32_e64 s[40:41], v243, v41                       // 000000007190: D0CB0028 000253F3
	v_add_u32_e32 v243, 64, v243                               // 000000007198: 69E7E6C0
	s_nop 0                                                    // 00000000719C: BF800000
	v_cndmask_b32_e64 v135, v69, v135, s[40:41]                // 0000000071A0: D1000087 00A30F45
	v_cmp_le_u32_e64 s[40:41], v240, v41                       // 0000000071A8: D0CB0028 000253F0
	v_add_u32_e32 v240, 64, v240                               // 0000000071B0: 69E1E0C0
	s_nop 0                                                    // 0000000071B4: BF800000
	v_cndmask_b32_e64 v136, v69, v136, s[40:41]                // 0000000071B8: D1000088 00A31145
	v_cmp_le_u32_e64 s[40:41], v241, v41                       // 0000000071C0: D0CB0028 000253F1
	v_add_u32_e32 v241, 64, v241                               // 0000000071C8: 69E3E2C0
	s_nop 0                                                    // 0000000071CC: BF800000
	v_cndmask_b32_e64 v137, v69, v137, s[40:41]                // 0000000071D0: D1000089 00A31345
	v_cmp_le_u32_e64 s[40:41], v242, v41                       // 0000000071D8: D0CB0028 000253F2
	v_add_u32_e32 v242, 64, v242                               // 0000000071E0: 69E5E4C0
	s_nop 0                                                    // 0000000071E4: BF800000
	v_cndmask_b32_e64 v138, v69, v138, s[40:41]                // 0000000071E8: D100008A 00A31545
	v_cmp_le_u32_e64 s[40:41], v243, v41                       // 0000000071F0: D0CB0028 000253F3
	v_add_u32_e32 v243, 64, v243                               // 0000000071F8: 69E7E6C0
	s_nop 0                                                    // 0000000071FC: BF800000
	v_cndmask_b32_e64 v139, v69, v139, s[40:41]                // 000000007200: D100008B 00A31745
	v_cmp_le_u32_e64 s[40:41], v240, v41                       // 000000007208: D0CB0028 000253F0
	v_add_u32_e32 v240, 64, v240                               // 000000007210: 69E1E0C0
	s_nop 0                                                    // 000000007214: BF800000
	v_cndmask_b32_e64 v140, v69, v140, s[40:41]                // 000000007218: D100008C 00A31945
	v_cmp_le_u32_e64 s[40:41], v241, v41                       // 000000007220: D0CB0028 000253F1
	v_add_u32_e32 v241, 64, v241                               // 000000007228: 69E3E2C0
	s_nop 0                                                    // 00000000722C: BF800000
	v_cndmask_b32_e64 v141, v69, v141, s[40:41]                // 000000007230: D100008D 00A31B45
	v_cmp_le_u32_e64 s[40:41], v242, v41                       // 000000007238: D0CB0028 000253F2
	v_add_u32_e32 v242, 64, v242                               // 000000007240: 69E5E4C0
	s_nop 0                                                    // 000000007244: BF800000
	v_cndmask_b32_e64 v142, v69, v142, s[40:41]                // 000000007248: D100008E 00A31D45
	v_cmp_le_u32_e64 s[40:41], v243, v41                       // 000000007250: D0CB0028 000253F3
	v_add_u32_e32 v243, 64, v243                               // 000000007258: 69E7E6C0
	s_nop 0                                                    // 00000000725C: BF800000
	v_cndmask_b32_e64 v143, v69, v143, s[40:41]                // 000000007260: D100008F 00A31F45

0000000000007268 <label_141A>:
	s_add_u32 s90, s91, s90                                    // 000000007268: 805A5A5B
	v_mov_b32_e32 v62, v128                                    // 00000000726C: 7E7C0380
	v_max3_f32 v62, v128, v129, v62                            // 000000007270: D1D3003E 04FB0380
	v_max3_f32 v62, v130, v131, v62                            // 000000007278: D1D3003E 04FB0782
	v_max3_f32 v62, v132, v133, v62                            // 000000007280: D1D3003E 04FB0B84
	v_max3_f32 v62, v134, v135, v62                            // 000000007288: D1D3003E 04FB0F86
	v_max3_f32 v62, v136, v137, v62                            // 000000007290: D1D3003E 04FB1388
	v_max3_f32 v62, v138, v139, v62                            // 000000007298: D1D3003E 04FB178A
	v_max3_f32 v62, v140, v141, v62                            // 0000000072A0: D1D3003E 04FB1B8C
	v_max3_f32 v62, v142, v143, v62                            // 0000000072A8: D1D3003E 04FB1F8E
	ds_write_b32 v11, v62 offset:16896                         // 0000000072B0: D81A4200 00003E0B
	buffer_load_dwordx4 a[24:27], v28, s[16:19], 0 offen       // 0000000072B8: E05C1000 8084181C
	v_mul_u32_u24_dpp v41, v19, v68 row_newbcast:1 row_mask:0xf bank_mask:0xf// 0000000072C0: 105288FA FF015113
	v_mul_u32_u24_dpp v42, v19, v68 row_newbcast:5 row_mask:0xf bank_mask:0xf// 0000000072C8: 105488FA FF015513
	v_mul_u32_u24_dpp v43, v19, v68 row_newbcast:9 row_mask:0xf bank_mask:0xf// 0000000072D0: 105688FA FF015913
	v_mul_u32_u24_dpp v44, v19, v68 row_newbcast:13 row_mask:0xf bank_mask:0xf// 0000000072D8: 105888FA FF015D13
	v_add_u32_e32 v33, v41, v7                                 // 0000000072E0: 68420F29
	v_add_u32_e32 v34, v42, v7                                 // 0000000072E4: 68440F2A
	v_add_u32_e32 v35, v43, v7                                 // 0000000072E8: 68460F2B
	v_add_u32_e32 v36, v44, v7                                 // 0000000072EC: 68480F2C
	v_mul_f32_e32 v224, v63, v224                              // 0000000072F0: 0BC1C13F
	v_mul_f32_e32 v225, v63, v225                              // 0000000072F4: 0BC3C33F
	v_mul_f32_e32 v226, v63, v226                              // 0000000072F8: 0BC5C53F
	v_mul_f32_e32 v227, v63, v227                              // 0000000072FC: 0BC7C73F
	v_mul_f32_e32 v228, v63, v228                              // 000000007300: 0BC9C93F
	v_mul_f32_e32 v229, v63, v229                              // 000000007304: 0BCBCB3F
	v_mul_f32_e32 v230, v63, v230                              // 000000007308: 0BCDCD3F
	v_mul_f32_e32 v231, v63, v231                              // 00000000730C: 0BCFCF3F
	s_waitcnt lgkmcnt(0)                                       // 000000007310: BF8CC07F
	s_barrier                                                  // 000000007314: BF8A0000
	ds_read_b32 v80, v10 offset:16896                          // 000000007318: D86C4200 5000000A
	ds_read_b32 v81, v10 offset:16960                          // 000000007320: D86C4240 5100000A
	ds_read_b32 v82, v10 offset:17024                          // 000000007328: D86C4280 5200000A
	ds_read_b32 v83, v10 offset:17088                          // 000000007330: D86C42C0 5300000A
	ds_read_b32 v84, v10 offset:17152                          // 000000007338: D86C4300 5400000A
	ds_read_b32 v85, v10 offset:17216                          // 000000007340: D86C4340 5500000A
	ds_read_b32 v86, v10 offset:17280                          // 000000007348: D86C4380 5600000A
	ds_read_b32 v87, v10 offset:17344                          // 000000007350: D86C43C0 5700000A
	ds_read_b32 v88, v10 offset:17408                          // 000000007358: D86C4400 5800000A
	ds_read_b32 v89, v10 offset:17472                          // 000000007360: D86C4440 5900000A
	ds_read_b32 v90, v10 offset:17536                          // 000000007368: D86C4480 5A00000A
	ds_read_b32 v91, v10 offset:17600                          // 000000007370: D86C44C0 5B00000A
	ds_read_b32 v92, v10 offset:17664                          // 000000007378: D86C4500 5C00000A
	ds_read_b32 v93, v10 offset:17728                          // 000000007380: D86C4540 5D00000A
	ds_read_b32 v94, v10 offset:17792                          // 000000007388: D86C4580 5E00000A
	ds_read_b32 v95, v10 offset:17856                          // 000000007390: D86C45C0 5F00000A
	buffer_load_dwordx4 a[28:31], v28, s[16:19], 0 offen offset:1024// 000000007398: E05C1400 80841C1C
	v_cvt_f32_i32_e32 v192, v192                               // 0000000073A0: 7F800BC0
	v_cvt_f32_i32_e32 v193, v193                               // 0000000073A4: 7F820BC1
	v_cvt_f32_i32_e32 v194, v194                               // 0000000073A8: 7F840BC2
	v_cvt_f32_i32_e32 v195, v195                               // 0000000073AC: 7F860BC3
	v_cvt_f32_i32_e32 v196, v196                               // 0000000073B0: 7F880BC4
	v_cvt_f32_i32_e32 v197, v197                               // 0000000073B4: 7F8A0BC5
	v_cvt_f32_i32_e32 v198, v198                               // 0000000073B8: 7F8C0BC6
	v_cvt_f32_i32_e32 v199, v199                               // 0000000073BC: 7F8E0BC7
	v_mul_f32_e32 v192, v58, v192                              // 0000000073C0: 0B81813A
	v_mul_f32_e32 v193, v58, v193                              // 0000000073C4: 0B83833A
	v_mul_f32_e32 v194, v58, v194                              // 0000000073C8: 0B85853A
	v_mul_f32_e32 v195, v58, v195                              // 0000000073CC: 0B87873A
	v_mul_f32_e32 v196, v58, v196                              // 0000000073D0: 0B89893A
	v_mul_f32_e32 v197, v58, v197                              // 0000000073D4: 0B8B8B3A
	v_mul_f32_e32 v198, v58, v198                              // 0000000073D8: 0B8D8D3A
	v_mul_f32_e32 v199, v58, v199                              // 0000000073DC: 0B8F8F3A
	s_waitcnt lgkmcnt(0)                                       // 0000000073E0: BF8CC07F
	v_max3_f32 v62, v80, v81, v62                              // 0000000073E4: D1D3003E 04FAA350
	v_max3_f32 v62, v82, v83, v62                              // 0000000073EC: D1D3003E 04FAA752
	v_max3_f32 v62, v84, v85, v62                              // 0000000073F4: D1D3003E 04FAAB54
	v_max3_f32 v62, v86, v87, v62                              // 0000000073FC: D1D3003E 04FAAF56
	v_max3_f32 v62, v88, v89, v62                              // 000000007404: D1D3003E 04FAB358
	v_max3_f32 v62, v90, v91, v62                              // 00000000740C: D1D3003E 04FAB75A
	v_max3_f32 v62, v92, v93, v62                              // 000000007414: D1D3003E 04FABB5C
	v_max3_f32 v62, v94, v95, v62                              // 00000000741C: D1D3003E 04FABF5E
	buffer_load_dwordx4 a[64:67], v33, s[20:23], 0 offen       // 000000007424: E05C1000 80854021
	v_mov_b32_e32 v41, 0xff800000                              // 00000000742C: 7E5202FF FF800000
	v_cmp_eq_u32_e64 s[40:41], v41, v14                        // 000000007434: D0CA0028 00021D29
	s_nop 1                                                    // 00000000743C: BF800001
	v_max_f32_e32 v18, v62, v14                                // 000000007440: 16241D3E
	v_mul_f32_e32 v67, s64, v18                                // 000000007444: 0A862440
	v_fma_f32 v128, v128, s64, -v67                            // 000000007448: D1CB0080 850C8180
	v_fma_f32 v129, v129, s64, -v67                            // 000000007450: D1CB0081 850C8181
	v_fma_f32 v130, v130, s64, -v67                            // 000000007458: D1CB0082 850C8182
	v_fma_f32 v131, v131, s64, -v67                            // 000000007460: D1CB0083 850C8183
	v_fma_f32 v132, v132, s64, -v67                            // 000000007468: D1CB0084 850C8184
	v_fma_f32 v133, v133, s64, -v67                            // 000000007470: D1CB0085 850C8185
	v_fma_f32 v134, v134, s64, -v67                            // 000000007478: D1CB0086 850C8186
	v_fma_f32 v135, v135, s64, -v67                            // 000000007480: D1CB0087 850C8187
	v_fma_f32 v136, v136, s64, -v67                            // 000000007488: D1CB0088 850C8188
	v_fma_f32 v137, v137, s64, -v67                            // 000000007490: D1CB0089 850C8189
	v_fma_f32 v138, v138, s64, -v67                            // 000000007498: D1CB008A 850C818A
	v_fma_f32 v139, v139, s64, -v67                            // 0000000074A0: D1CB008B 850C818B
	v_fma_f32 v140, v140, s64, -v67                            // 0000000074A8: D1CB008C 850C818C
	v_fma_f32 v141, v141, s64, -v67                            // 0000000074B0: D1CB008D 850C818D
	v_fma_f32 v142, v142, s64, -v67                            // 0000000074B8: D1CB008E 850C818E
	v_fma_f32 v143, v143, s64, -v67                            // 0000000074C0: D1CB008F 850C818F
	buffer_load_dwordx4 a[68:71], v34, s[20:23], 0 offen       // 0000000074C8: E05C1000 80854422
	v_exp_f32_e32 v128, v128                                   // 0000000074D0: 7F004180
	v_exp_f32_e32 v129, v129                                   // 0000000074D4: 7F024181
	v_exp_f32_e32 v130, v130                                   // 0000000074D8: 7F044182
	v_exp_f32_e32 v131, v131                                   // 0000000074DC: 7F064183
	v_exp_f32_e32 v132, v132                                   // 0000000074E0: 7F084184
	v_exp_f32_e32 v133, v133                                   // 0000000074E4: 7F0A4185
	v_exp_f32_e32 v134, v134                                   // 0000000074E8: 7F0C4186
	v_exp_f32_e32 v135, v135                                   // 0000000074EC: 7F0E4187
	v_exp_f32_e32 v136, v136                                   // 0000000074F0: 7F104188
	v_exp_f32_e32 v137, v137                                   // 0000000074F4: 7F124189
	v_exp_f32_e32 v138, v138                                   // 0000000074F8: 7F14418A
	v_exp_f32_e32 v139, v139                                   // 0000000074FC: 7F16418B
	v_exp_f32_e32 v140, v140                                   // 000000007500: 7F18418C
	v_exp_f32_e32 v141, v141                                   // 000000007504: 7F1A418D
	v_exp_f32_e32 v142, v142                                   // 000000007508: 7F1C418E
	v_exp_f32_e32 v143, v143                                   // 00000000750C: 7F1E418F
	buffer_load_dwordx4 a[72:75], v35, s[20:23], 0 offen       // 000000007510: E05C1000 80854823
	v_mul_f32_dpp v240, v252, v128 quad_perm:[0,0,0,0] row_mask:0xf bank_mask:0xf// 000000007518: 0BE100FA FF0000FC
	v_mul_f32_dpp v241, v252, v129 quad_perm:[1,1,1,1] row_mask:0xf bank_mask:0xf// 000000007520: 0BE302FA FF0055FC
	v_mul_f32_dpp v242, v252, v130 quad_perm:[2,2,2,2] row_mask:0xf bank_mask:0xf// 000000007528: 0BE504FA FF00AAFC
	v_mul_f32_dpp v243, v252, v131 quad_perm:[3,3,3,3] row_mask:0xf bank_mask:0xf// 000000007530: 0BE706FA FF00FFFC
	v_mul_f32_dpp v244, v253, v132 quad_perm:[0,0,0,0] row_mask:0xf bank_mask:0xf// 000000007538: 0BE908FA FF0000FD
	v_mul_f32_dpp v245, v253, v133 quad_perm:[1,1,1,1] row_mask:0xf bank_mask:0xf// 000000007540: 0BEB0AFA FF0055FD
	v_mul_f32_dpp v246, v253, v134 quad_perm:[2,2,2,2] row_mask:0xf bank_mask:0xf// 000000007548: 0BED0CFA FF00AAFD
	v_mul_f32_dpp v247, v253, v135 quad_perm:[3,3,3,3] row_mask:0xf bank_mask:0xf// 000000007550: 0BEF0EFA FF00FFFD
	v_mul_f32_dpp v248, v254, v136 quad_perm:[0,0,0,0] row_mask:0xf bank_mask:0xf// 000000007558: 0BF110FA FF0000FE
	v_mul_f32_dpp v249, v254, v137 quad_perm:[1,1,1,1] row_mask:0xf bank_mask:0xf// 000000007560: 0BF312FA FF0055FE
	v_mul_f32_dpp v250, v254, v138 quad_perm:[2,2,2,2] row_mask:0xf bank_mask:0xf// 000000007568: 0BF514FA FF00AAFE
	v_mul_f32_dpp v251, v254, v139 quad_perm:[3,3,3,3] row_mask:0xf bank_mask:0xf// 000000007570: 0BF716FA FF00FFFE
	v_mul_f32_dpp v252, v255, v140 quad_perm:[0,0,0,0] row_mask:0xf bank_mask:0xf// 000000007578: 0BF918FA FF0000FF
	v_mul_f32_dpp v253, v255, v141 quad_perm:[1,1,1,1] row_mask:0xf bank_mask:0xf// 000000007580: 0BFB1AFA FF0055FF
	v_mul_f32_dpp v254, v255, v142 quad_perm:[2,2,2,2] row_mask:0xf bank_mask:0xf// 000000007588: 0BFD1CFA FF00AAFF
	v_mul_f32_dpp v255, v255, v143 quad_perm:[3,3,3,3] row_mask:0xf bank_mask:0xf// 000000007590: 0BFF1EFA FF00FFFF
	v_mov_b32_e32 v62, 0x358637bd                              // 000000007598: 7E7C02FF 358637BD
	v_max3_f32 v62, |v240|, |v241|, v62                        // 0000000075A0: D1D3033E 04FBE3F0
	v_max3_f32 v62, |v242|, |v243|, v62                        // 0000000075A8: D1D3033E 04FBE7F2
	v_max3_f32 v62, |v244|, |v245|, v62                        // 0000000075B0: D1D3033E 04FBEBF4
	v_max3_f32 v62, |v246|, |v247|, v62                        // 0000000075B8: D1D3033E 04FBEFF6
	v_max3_f32 v62, |v248|, |v249|, v62                        // 0000000075C0: D1D3033E 04FBF3F8
	v_max3_f32 v62, |v250|, |v251|, v62                        // 0000000075C8: D1D3033E 04FBF7FA
	v_max3_f32 v62, |v252|, |v253|, v62                        // 0000000075D0: D1D3033E 04FBFBFC
	v_max3_f32 v62, |v254|, |v255|, v62                        // 0000000075D8: D1D3033E 04FBFFFE
	buffer_load_dwordx4 a[76:79], v36, s[20:23], 0 offen       // 0000000075E0: E05C1000 80854C24
	ds_write_b32 v11, v62 offset:20992                         // 0000000075E8: D81A5200 00003E0B
	v_sub_f32_e32 v63, v14, v18                                // 0000000075F0: 047E250E
	v_cndmask_b32_e64 v63, v63, 0, s[40:41]                    // 0000000075F4: D100003F 00A1013F
	v_mov_b32_e32 v14, v18                                     // 0000000075FC: 7E1C0312
	v_mul_f32_e32 v63, s64, v63                                // 000000007600: 0A7E7E40
	v_exp_f32_e32 v63, v63                                     // 000000007604: 7E7E413F
	s_waitcnt lgkmcnt(0)                                       // 000000007608: BF8CC07F
	s_barrier                                                  // 00000000760C: BF8A0000
	ds_read_b32 v80, v10 offset:20992                          // 000000007610: D86C5200 5000000A
	ds_read_b32 v81, v10 offset:21056                          // 000000007618: D86C5240 5100000A
	ds_read_b32 v82, v10 offset:21120                          // 000000007620: D86C5280 5200000A
	ds_read_b32 v83, v10 offset:21184                          // 000000007628: D86C52C0 5300000A
	ds_read_b32 v84, v10 offset:21248                          // 000000007630: D86C5300 5400000A
	ds_read_b32 v85, v10 offset:21312                          // 000000007638: D86C5340 5500000A
	ds_read_b32 v86, v10 offset:21376                          // 000000007640: D86C5380 5600000A
	ds_read_b32 v87, v10 offset:21440                          // 000000007648: D86C53C0 5700000A
	ds_read_b32 v88, v10 offset:21504                          // 000000007650: D86C5400 5800000A
	ds_read_b32 v89, v10 offset:21568                          // 000000007658: D86C5440 5900000A
	ds_read_b32 v90, v10 offset:21632                          // 000000007660: D86C5480 5A00000A
	ds_read_b32 v91, v10 offset:21696                          // 000000007668: D86C54C0 5B00000A
	ds_read_b32 v92, v10 offset:21760                          // 000000007670: D86C5500 5C00000A
	ds_read_b32 v93, v10 offset:21824                          // 000000007678: D86C5540 5D00000A
	ds_read_b32 v94, v10 offset:21888                          // 000000007680: D86C5580 5E00000A
	ds_read_b32 v95, v10 offset:21952                          // 000000007688: D86C55C0 5F00000A
	v_mul_f32_e32 v47, v63, v47                                // 000000007690: 0A5E5F3F
	v_mov_b32_e32 v18, v128                                    // 000000007694: 7E240380
	v_add_f32_e32 v18, v129, v18                               // 000000007698: 02242581
	v_add_f32_e32 v18, v130, v18                               // 00000000769C: 02242582
	v_add_f32_e32 v18, v131, v18                               // 0000000076A0: 02242583
	v_add_f32_e32 v18, v132, v18                               // 0000000076A4: 02242584
	v_add_f32_e32 v18, v133, v18                               // 0000000076A8: 02242585
	v_add_f32_e32 v18, v134, v18                               // 0000000076AC: 02242586
	v_add_f32_e32 v18, v135, v18                               // 0000000076B0: 02242587
	v_add_f32_e32 v18, v136, v18                               // 0000000076B4: 02242588
	v_add_f32_e32 v18, v137, v18                               // 0000000076B8: 02242589
	v_add_f32_e32 v18, v138, v18                               // 0000000076BC: 0224258A
	v_add_f32_e32 v18, v139, v18                               // 0000000076C0: 0224258B
	v_add_f32_e32 v18, v140, v18                               // 0000000076C4: 0224258C
	v_add_f32_e32 v18, v141, v18                               // 0000000076C8: 0224258D
	v_add_f32_e32 v18, v142, v18                               // 0000000076CC: 0224258E
	v_add_f32_e32 v18, v143, v18                               // 0000000076D0: 0224258F
	v_add_f32_e32 v47, v18, v47                                // 0000000076D4: 025E5F12
	s_waitcnt lgkmcnt(0)                                       // 0000000076D8: BF8CC07F
	v_max3_f32 v62, |v80|, |v81|, v62                          // 0000000076DC: D1D3033E 04FAA350
	v_max3_f32 v62, |v82|, |v83|, v62                          // 0000000076E4: D1D3033E 04FAA752
	v_max3_f32 v62, |v84|, |v85|, v62                          // 0000000076EC: D1D3033E 04FAAB54
	v_max3_f32 v62, |v86|, |v87|, v62                          // 0000000076F4: D1D3033E 04FAAF56
	v_max3_f32 v62, |v88|, |v89|, v62                          // 0000000076FC: D1D3033E 04FAB358
	v_max3_f32 v62, |v90|, |v91|, v62                          // 000000007704: D1D3033E 04FAB75A
	v_max3_f32 v62, |v92|, |v93|, v62                          // 00000000770C: D1D3033E 04FABB5C
	v_max3_f32 v62, |v94|, |v95|, v62                          // 000000007714: D1D3033E 04FABF5E
	s_nop 2                                                    // 00000000771C: BF800002
	v_rcp_f32_e32 v62, v62                                     // 000000007720: 7E7C453E
	s_nop 1                                                    // 000000007724: BF800001
	v_mul_f32_e32 v62, 0x42fe0000, v62                         // 000000007728: 0A7C7CFF 42FE0000
	v_mul_f32_e32 v128, v62, v240                              // 000000007730: 0B01E13E
	v_mul_f32_e32 v129, v62, v241                              // 000000007734: 0B03E33E
	v_mul_f32_e32 v130, v62, v242                              // 000000007738: 0B05E53E
	v_mul_f32_e32 v131, v62, v243                              // 00000000773C: 0B07E73E
	v_mul_f32_e32 v132, v62, v244                              // 000000007740: 0B09E93E
	v_mul_f32_e32 v133, v62, v245                              // 000000007744: 0B0BEB3E
	v_mul_f32_e32 v134, v62, v246                              // 000000007748: 0B0DED3E
	v_mul_f32_e32 v135, v62, v247                              // 00000000774C: 0B0FEF3E
	v_mul_f32_e32 v136, v62, v248                              // 000000007750: 0B11F13E
	v_mul_f32_e32 v137, v62, v249                              // 000000007754: 0B13F33E
	v_mul_f32_e32 v138, v62, v250                              // 000000007758: 0B15F53E
	v_mul_f32_e32 v139, v62, v251                              // 00000000775C: 0B17F73E
	v_mul_f32_e32 v140, v62, v252                              // 000000007760: 0B19F93E
	v_mul_f32_e32 v141, v62, v253                              // 000000007764: 0B1BFB3E
	v_mul_f32_e32 v142, v62, v254                              // 000000007768: 0B1DFD3E
	v_mul_f32_e32 v143, v62, v255                              // 00000000776C: 0B1FFF3E
	v_cvt_i32_f32_e32 v128, v128                               // 000000007770: 7F001180
	v_cvt_i32_f32_e32 v129, v129                               // 000000007774: 7F021181
	v_cvt_i32_f32_e32 v130, v130                               // 000000007778: 7F041182
	v_cvt_i32_f32_e32 v131, v131                               // 00000000777C: 7F061183
	v_cvt_i32_f32_e32 v132, v132                               // 000000007780: 7F081184
	v_cvt_i32_f32_e32 v133, v133                               // 000000007784: 7F0A1185
	v_cvt_i32_f32_e32 v134, v134                               // 000000007788: 7F0C1186
	v_cvt_i32_f32_e32 v135, v135                               // 00000000778C: 7F0E1187
	v_cvt_i32_f32_e32 v136, v136                               // 000000007790: 7F101188
	v_cvt_i32_f32_e32 v137, v137                               // 000000007794: 7F121189
	v_cvt_i32_f32_e32 v138, v138                               // 000000007798: 7F14118A
	v_cvt_i32_f32_e32 v139, v139                               // 00000000779C: 7F16118B
	v_cvt_i32_f32_e32 v140, v140                               // 0000000077A0: 7F18118C
	v_cvt_i32_f32_e32 v141, v141                               // 0000000077A4: 7F1A118D
	v_cvt_i32_f32_e32 v142, v142                               // 0000000077A8: 7F1C118E
	v_cvt_i32_f32_e32 v143, v143                               // 0000000077AC: 7F1E118F
	v_perm_b32 v128, v129, v128, s53                           // 0000000077B0: D1ED0080 00D70181
	v_perm_b32 v128, v130, v128, s54                           // 0000000077B8: D1ED0080 00DB0182
	v_perm_b32 v128, v131, v128, s55                           // 0000000077C0: D1ED0080 00DF0183
	v_perm_b32 v129, v133, v132, s53                           // 0000000077C8: D1ED0081 00D70985
	v_perm_b32 v129, v134, v129, s54                           // 0000000077D0: D1ED0081 00DB0386
	v_perm_b32 v129, v135, v129, s55                           // 0000000077D8: D1ED0081 00DF0387
	v_perm_b32 v130, v137, v136, s53                           // 0000000077E0: D1ED0082 00D71189
	v_perm_b32 v130, v138, v130, s54                           // 0000000077E8: D1ED0082 00DB058A
	v_perm_b32 v130, v139, v130, s55                           // 0000000077F0: D1ED0082 00DF058B
	v_perm_b32 v131, v141, v140, s53                           // 0000000077F8: D1ED0083 00D7198D
	v_perm_b32 v131, v142, v131, s54                           // 000000007800: D1ED0083 00DB078E
	v_perm_b32 v131, v143, v131, s55                           // 000000007808: D1ED0083 00DF078F
	ds_write_b32 v13, v128 offset:25088                        // 000000007810: D81A6200 0000800D
	ds_write_b32 v13, v129 offset:26112                        // 000000007818: D81A6600 0000810D
	ds_write_b32 v13, v130 offset:27136                        // 000000007820: D81A6A00 0000820D
	ds_write_b32 v13, v131 offset:28160                        // 000000007828: D81A6E00 0000830D
	v_add_f32_e32 v224, v224, v192                             // 000000007830: 03C181E0
	v_add_f32_e32 v225, v225, v193                             // 000000007834: 03C383E1
	v_add_f32_e32 v226, v226, v194                             // 000000007838: 03C585E2
	v_add_f32_e32 v227, v227, v195                             // 00000000783C: 03C787E3
	v_add_f32_e32 v228, v228, v196                             // 000000007840: 03C989E4
	v_add_f32_e32 v229, v229, v197                             // 000000007844: 03CB8BE5
	v_add_f32_e32 v230, v230, v198                             // 000000007848: 03CD8DE6
	v_add_f32_e32 v231, v231, v199                             // 00000000784C: 03CF8FE7
	v_rcp_f32_e32 v58, v62                                     // 000000007850: 7E74453E
	s_waitcnt lgkmcnt(0)                                       // 000000007854: BF8CC07F
	s_barrier                                                  // 000000007858: BF8A0000
	ds_read_b64 v[128:129], v12 offset:25088                   // 00000000785C: D8EC6200 8000000C
	ds_read_b64 v[130:131], v12 offset:25216                   // 000000007864: D8EC6280 8200000C
	ds_read_b64 v[132:133], v12 offset:26112                   // 00000000786C: D8EC6600 8400000C
	ds_read_b64 v[134:135], v12 offset:26240                   // 000000007874: D8EC6680 8600000C
	ds_read_b64 v[136:137], v12 offset:27136                   // 00000000787C: D8EC6A00 8800000C
	ds_read_b64 v[138:139], v12 offset:27264                   // 000000007884: D8EC6A80 8A00000C
	ds_read_b64 v[140:141], v12 offset:28160                   // 00000000788C: D8EC6E00 8C00000C
	ds_read_b64 v[142:143], v12 offset:28288                   // 000000007894: D8EC6E80 8E00000C
	s_waitcnt vmcnt(15)                                        // 00000000789C: BF8C0F7F
	s_waitcnt lgkmcnt(7)                                       // 0000000078A0: BF8CC77F
	v_mfma_i32_16x16x32_i8 v[192:195], a[96:97], v[128:129], 0 // 0000000078A4: D3D700C0 0A030160
	s_waitcnt lgkmcnt(6)                                       // 0000000078AC: BF8CC67F
	v_mfma_i32_16x16x32_i8 v[192:195], a[98:99], v[130:131], v[192:195]// 0000000078B0: D3D700C0 0F030562
	buffer_load_dwordx4 a[80:83], v33, s[20:23], 0 offen offset:1024// 0000000078B8: E05C1400 80855021
	s_waitcnt lgkmcnt(5)                                       // 0000000078C0: BF8CC57F
	v_mfma_i32_16x16x32_i8 v[192:195], a[100:101], v[132:133], v[192:195]// 0000000078C4: D3D700C0 0F030964
	s_waitcnt lgkmcnt(4)                                       // 0000000078CC: BF8CC47F
	v_mfma_i32_16x16x32_i8 v[192:195], a[102:103], v[134:135], v[192:195]// 0000000078D0: D3D700C0 0F030D66
	s_waitcnt lgkmcnt(3)                                       // 0000000078D8: BF8CC37F
	v_mfma_i32_16x16x32_i8 v[192:195], a[104:105], v[136:137], v[192:195]// 0000000078DC: D3D700C0 0F031168
	s_waitcnt lgkmcnt(2)                                       // 0000000078E4: BF8CC27F
	v_mfma_i32_16x16x32_i8 v[192:195], a[106:107], v[138:139], v[192:195]// 0000000078E8: D3D700C0 0F03156A
	buffer_load_dwordx4 a[84:87], v34, s[20:23], 0 offen offset:1024// 0000000078F0: E05C1400 80855422
	s_waitcnt lgkmcnt(1)                                       // 0000000078F8: BF8CC17F
	v_mfma_i32_16x16x32_i8 v[192:195], a[108:109], v[140:141], v[192:195]// 0000000078FC: D3D700C0 0F03196C
	s_waitcnt lgkmcnt(0)                                       // 000000007904: BF8CC07F
	v_mfma_i32_16x16x32_i8 v[192:195], a[110:111], v[142:143], v[192:195]// 000000007908: D3D700C0 0F031D6E
	v_mfma_i32_16x16x32_i8 v[196:199], a[112:113], v[128:129], 0// 000000007910: D3D700C4 0A030170
	v_mfma_i32_16x16x32_i8 v[196:199], a[114:115], v[130:131], v[196:199]// 000000007918: D3D700C4 0F130572
	buffer_load_dwordx4 a[88:91], v35, s[20:23], 0 offen offset:1024// 000000007920: E05C1400 80855823
	v_mfma_i32_16x16x32_i8 v[196:199], a[116:117], v[132:133], v[196:199]// 000000007928: D3D700C4 0F130974
	v_mfma_i32_16x16x32_i8 v[196:199], a[118:119], v[134:135], v[196:199]// 000000007930: D3D700C4 0F130D76
	v_mfma_i32_16x16x32_i8 v[196:199], a[120:121], v[136:137], v[196:199]// 000000007938: D3D700C4 0F131178
	v_mfma_i32_16x16x32_i8 v[196:199], a[122:123], v[138:139], v[196:199]// 000000007940: D3D700C4 0F13157A
	buffer_load_dwordx4 a[92:95], v36, s[20:23], 0 offen offset:1024// 000000007948: E05C1400 80855C24
	v_mfma_i32_16x16x32_i8 v[196:199], a[124:125], v[140:141], v[196:199]// 000000007950: D3D700C4 0F13197C
	s_lshr_b32 s57, s70, 4                                     // 000000007958: 8F398446
	s_add_u32 s57, 48, s57                                     // 00000000795C: 803939B0
	v_mfma_i32_16x16x32_i8 v[196:199], a[126:127], v[142:143], v[196:199]// 000000007960: D3D700C4 0F131D7E
	s_cmp_ge_u32 s57, s73                                      // 000000007968: BF094939
	s_cselect_b32 s56, 0, s56                                  // 00000000796C: 85383880
	v_add_u32_e32 v1, s56, v1                                  // 000000007970: 68020238
	s_addk_i32 s70, 0x100                                      // 000000007974: B7460100
	s_cmp_lt_i32 s70, s71                                      // 000000007978: BF044746
	s_cbranch_scc0 label_15E1                                  // 00000000797C: BF840001
	s_branch label_0FF8                                        // 000000007980: BF82FA17

0000000000007984 <label_15E1>:
	s_nop 0                                                    // 000000007984: BF800000
	s_nop 0                                                    // 000000007988: BF800000
	s_branch label_1BCD                                        // 00000000798C: BF8205E9

0000000000007990 <label_15E4>:
	s_waitcnt vmcnt(8) lgkmcnt(0)                              // 000000007990: BF8C0078
	v_mul_u32_u24_dpp v41, v20, v68 row_newbcast:0 row_mask:0xf bank_mask:0xf// 000000007994: 105288FA FF015014
	v_mul_u32_u24_dpp v42, v20, v68 row_newbcast:4 row_mask:0xf bank_mask:0xf// 00000000799C: 105488FA FF015414
	v_mul_u32_u24_dpp v43, v20, v68 row_newbcast:8 row_mask:0xf bank_mask:0xf// 0000000079A4: 105688FA FF015814
	v_mul_u32_u24_dpp v44, v20, v68 row_newbcast:12 row_mask:0xf bank_mask:0xf// 0000000079AC: 105888FA FF015C14
	v_add_u32_e32 v29, v41, v6                                 // 0000000079B4: 683A0D29
	v_add_u32_e32 v30, v42, v6                                 // 0000000079B8: 683C0D2A
	v_add_u32_e32 v31, v43, v6                                 // 0000000079BC: 683E0D2B
	v_add_u32_e32 v32, v44, v6                                 // 0000000079C0: 68400D2C
	v_mul_u32_u24_dpp v41, v20, v78 quad_perm:[0,0,0,0] row_mask:0xf bank_mask:0xf// 0000000079C4: 10529CFA FF000014
	v_add_u32_e32 v3, v41, v74                                 // 0000000079CC: 68069529
	v_mul_u32_u24_dpp v41, v20, v78 quad_perm:[0,0,0,0] row_mask:0xf bank_mask:0xf// 0000000079D0: 10529CFA FF000014
	v_add_u32_e32 v71, v41, v75                                // 0000000079D8: 688E9729
	v_mfma_i32_16x16x32_i8 v[128:131], a[0:1], v[96:97], 0     // 0000000079DC: D3D70080 0A02C100
	buffer_load_dwordx4 a[32:35], v29, s[16:19], 0 offen       // 0000000079E4: E05C1000 8084201D
	v_mfma_i32_16x16x32_i8 v[128:131], a[2:3], v[98:99], v[128:131]// 0000000079EC: D3D70080 0E02C502
	v_mfma_i32_16x16x32_i8 v[128:131], a[4:5], v[100:101], v[128:131]// 0000000079F4: D3D70080 0E02C904
	buffer_load_dword v19, v1, s[24:27], 0 offen               // 0000000079FC: E0501000 80061301
	v_mfma_i32_16x16x32_i8 v[128:131], a[6:7], v[102:103], v[128:131]// 000000007A04: D3D70080 0E02CD06
	v_mfma_i32_16x16x32_i8 v[132:135], a[8:9], v[96:97], 0     // 000000007A0C: D3D70084 0A02C108
	buffer_load_dwordx4 a[36:39], v29, s[16:19], 0 offen offset:1024// 000000007A14: E05C1400 8084241D
	v_mfma_i32_16x16x32_i8 v[132:135], a[10:11], v[98:99], v[132:135]// 000000007A1C: D3D70084 0E12C50A
	v_mfma_i32_16x16x32_i8 v[132:135], a[12:13], v[100:101], v[132:135]// 000000007A24: D3D70084 0E12C90C
	v_mfma_i32_16x16x32_i8 v[132:135], a[14:15], v[102:103], v[132:135]// 000000007A2C: D3D70084 0E12CD0E
	v_mfma_i32_16x16x32_i8 v[136:139], a[16:17], v[96:97], 0   // 000000007A34: D3D70088 0A02C110
	buffer_load_dwordx4 a[40:43], v30, s[16:19], 0 offen       // 000000007A3C: E05C1000 8084281E
	v_mfma_i32_16x16x32_i8 v[136:139], a[18:19], v[98:99], v[136:139]// 000000007A44: D3D70088 0E22C512
	v_mfma_i32_16x16x32_i8 v[136:139], a[20:21], v[100:101], v[136:139]// 000000007A4C: D3D70088 0E22C914
	v_mfma_i32_16x16x32_i8 v[136:139], a[22:23], v[102:103], v[136:139]// 000000007A54: D3D70088 0E22CD16
	v_mfma_i32_16x16x32_i8 v[140:143], a[24:25], v[96:97], 0   // 000000007A5C: D3D7008C 0A02C118
	buffer_load_dwordx4 a[44:47], v30, s[16:19], 0 offen offset:1024// 000000007A64: E05C1400 80842C1E
	v_mfma_i32_16x16x32_i8 v[140:143], a[26:27], v[98:99], v[140:143]// 000000007A6C: D3D7008C 0E32C51A
	v_mfma_i32_16x16x32_i8 v[140:143], a[28:29], v[100:101], v[140:143]// 000000007A74: D3D7008C 0E32C91C
	v_mfma_i32_16x16x32_i8 v[140:143], a[30:31], v[102:103], v[140:143]// 000000007A7C: D3D7008C 0E32CD1E
	buffer_load_dword v53, v3, s[32:35], 0 offen               // 000000007A84: E0501000 80083503
	v_mov_b32_dpp v41, v52 row_shr:4 row_mask:0xf bank_mask:0xf// 000000007A8C: 7E5202FA FF011434
	v_mov_b32_dpp v42, v52 row_shl:4 row_mask:0xf bank_mask:0xf// 000000007A94: 7E5402FA FF010434
	v_cndmask_b32_e64 v248, v52, v41, s[44:45]                 // 000000007A9C: D10000F8 00B25334
	v_cndmask_b32_e64 v249, v42, v52, s[44:45]                 // 000000007AA4: D10000F9 00B2692A
	v_mov_b32_dpp v41, v248 row_shr:8 row_mask:0xf bank_mask:0xf// 000000007AAC: 7E5202FA FF0118F8
	v_mov_b32_dpp v42, v248 row_shl:8 row_mask:0xf bank_mask:0xf// 000000007AB4: 7E5402FA FF0108F8
	v_mov_b32_dpp v43, v249 row_shr:8 row_mask:0xf bank_mask:0xf// 000000007ABC: 7E5602FA FF0118F9
	v_mov_b32_dpp v44, v249 row_shl:8 row_mask:0xf bank_mask:0xf// 000000007AC4: 7E5802FA FF0108F9
	v_mov_b32_e32 v45, v248                                    // 000000007ACC: 7E5A03F8
	v_mov_b32_e32 v46, v249                                    // 000000007AD0: 7E5C03F9
	v_cndmask_b32_e64 v248, v45, v41, s[42:43]                 // 000000007AD4: D10000F8 00AA532D
	v_cndmask_b32_e64 v250, v45, v42, s[78:79]                 // 000000007ADC: D10000FA 013A552D
	v_cndmask_b32_e64 v249, v46, v43, s[42:43]                 // 000000007AE4: D10000F9 00AA572E
	v_cndmask_b32_e64 v251, v46, v44, s[78:79]                 // 000000007AEC: D10000FB 013A592E
	v_mov_b32_dpp v41, v72 row_shr:4 row_mask:0xf bank_mask:0xf// 000000007AF4: 7E5202FA FF011448
	v_mov_b32_dpp v42, v72 row_shl:4 row_mask:0xf bank_mask:0xf// 000000007AFC: 7E5402FA FF010448
	v_cndmask_b32_e64 v252, v72, v41, s[44:45]                 // 000000007B04: D10000FC 00B25348
	v_cndmask_b32_e64 v253, v42, v72, s[44:45]                 // 000000007B0C: D10000FD 00B2912A
	v_mov_b32_dpp v41, v252 row_shr:8 row_mask:0xf bank_mask:0xf// 000000007B14: 7E5202FA FF0118FC
	v_mov_b32_dpp v42, v252 row_shl:8 row_mask:0xf bank_mask:0xf// 000000007B1C: 7E5402FA FF0108FC
	v_mov_b32_dpp v43, v253 row_shr:8 row_mask:0xf bank_mask:0xf// 000000007B24: 7E5602FA FF0118FD
	v_mov_b32_dpp v44, v253 row_shl:8 row_mask:0xf bank_mask:0xf// 000000007B2C: 7E5802FA FF0108FD
	v_mov_b32_e32 v45, v252                                    // 000000007B34: 7E5A03FC
	v_mov_b32_e32 v46, v253                                    // 000000007B38: 7E5C03FD
	v_cndmask_b32_e64 v252, v45, v41, s[42:43]                 // 000000007B3C: D10000FC 00AA532D
	v_cndmask_b32_e64 v254, v45, v42, s[78:79]                 // 000000007B44: D10000FE 013A552D
	v_cndmask_b32_e64 v253, v46, v43, s[42:43]                 // 000000007B4C: D10000FD 00AA572E
	v_cndmask_b32_e64 v255, v46, v44, s[78:79]                 // 000000007B54: D10000FF 013A592E
	buffer_load_dword v73, v71, s[36:39], 0 offen              // 000000007B5C: E0501000 80094947
	v_cvt_f32_i32_e32 v128, v128                               // 000000007B64: 7F000B80
	v_cvt_f32_i32_e32 v129, v129                               // 000000007B68: 7F020B81
	v_cvt_f32_i32_e32 v130, v130                               // 000000007B6C: 7F040B82
	v_cvt_f32_i32_e32 v131, v131                               // 000000007B70: 7F060B83
	v_cvt_f32_i32_e32 v132, v132                               // 000000007B74: 7F080B84
	v_cvt_f32_i32_e32 v133, v133                               // 000000007B78: 7F0A0B85
	v_cvt_f32_i32_e32 v134, v134                               // 000000007B7C: 7F0C0B86
	v_cvt_f32_i32_e32 v135, v135                               // 000000007B80: 7F0E0B87
	v_cvt_f32_i32_e32 v136, v136                               // 000000007B84: 7F100B88
	v_cvt_f32_i32_e32 v137, v137                               // 000000007B88: 7F120B89
	v_cvt_f32_i32_e32 v138, v138                               // 000000007B8C: 7F140B8A
	v_cvt_f32_i32_e32 v139, v139                               // 000000007B90: 7F160B8B
	v_cvt_f32_i32_e32 v140, v140                               // 000000007B94: 7F180B8C
	v_cvt_f32_i32_e32 v141, v141                               // 000000007B98: 7F1A0B8D
	v_cvt_f32_i32_e32 v142, v142                               // 000000007B9C: 7F1C0B8E
	v_cvt_f32_i32_e32 v143, v143                               // 000000007BA0: 7F1E0B8F
	v_mul_f32_e32 v128, v54, v128                              // 000000007BA4: 0B010136
	v_mul_f32_e32 v129, v54, v129                              // 000000007BA8: 0B030336
	v_mul_f32_e32 v130, v54, v130                              // 000000007BAC: 0B050536
	v_mul_f32_e32 v131, v54, v131                              // 000000007BB0: 0B070736
	v_mul_f32_e32 v132, v54, v132                              // 000000007BB4: 0B090936
	v_mul_f32_e32 v133, v54, v133                              // 000000007BB8: 0B0B0B36
	v_mul_f32_e32 v134, v54, v134                              // 000000007BBC: 0B0D0D36
	v_mul_f32_e32 v135, v54, v135                              // 000000007BC0: 0B0F0F36
	v_mul_f32_e32 v136, v54, v136                              // 000000007BC4: 0B111136
	v_mul_f32_e32 v137, v54, v137                              // 000000007BC8: 0B131336
	v_mul_f32_e32 v138, v54, v138                              // 000000007BCC: 0B151536
	v_mul_f32_e32 v139, v54, v139                              // 000000007BD0: 0B171736
	v_mul_f32_e32 v140, v54, v140                              // 000000007BD4: 0B191936
	v_mul_f32_e32 v141, v54, v141                              // 000000007BD8: 0B1B1B36
	v_mul_f32_e32 v142, v54, v142                              // 000000007BDC: 0B1D1D36
	v_mul_f32_e32 v143, v54, v143                              // 000000007BE0: 0B1F1F36
	buffer_load_dwordx4 a[48:51], v31, s[16:19], 0 offen       // 000000007BE4: E05C1000 8084301F
	v_mul_f32_dpp v128, v248, v128 quad_perm:[0,0,0,0] row_mask:0xf bank_mask:0xf// 000000007BEC: 0B0100FA FF0000F8
	v_mul_f32_dpp v129, v248, v129 quad_perm:[1,1,1,1] row_mask:0xf bank_mask:0xf// 000000007BF4: 0B0302FA FF0055F8
	v_mul_f32_dpp v130, v248, v130 quad_perm:[2,2,2,2] row_mask:0xf bank_mask:0xf// 000000007BFC: 0B0504FA FF00AAF8
	v_mul_f32_dpp v131, v248, v131 quad_perm:[3,3,3,3] row_mask:0xf bank_mask:0xf// 000000007C04: 0B0706FA FF00FFF8
	v_mul_f32_dpp v132, v249, v132 quad_perm:[0,0,0,0] row_mask:0xf bank_mask:0xf// 000000007C0C: 0B0908FA FF0000F9
	v_mul_f32_dpp v133, v249, v133 quad_perm:[1,1,1,1] row_mask:0xf bank_mask:0xf// 000000007C14: 0B0B0AFA FF0055F9
	v_mul_f32_dpp v134, v249, v134 quad_perm:[2,2,2,2] row_mask:0xf bank_mask:0xf// 000000007C1C: 0B0D0CFA FF00AAF9
	v_mul_f32_dpp v135, v249, v135 quad_perm:[3,3,3,3] row_mask:0xf bank_mask:0xf// 000000007C24: 0B0F0EFA FF00FFF9
	v_mul_f32_dpp v136, v250, v136 quad_perm:[0,0,0,0] row_mask:0xf bank_mask:0xf// 000000007C2C: 0B1110FA FF0000FA
	v_mul_f32_dpp v137, v250, v137 quad_perm:[1,1,1,1] row_mask:0xf bank_mask:0xf// 000000007C34: 0B1312FA FF0055FA
	v_mul_f32_dpp v138, v250, v138 quad_perm:[2,2,2,2] row_mask:0xf bank_mask:0xf// 000000007C3C: 0B1514FA FF00AAFA
	v_mul_f32_dpp v139, v250, v139 quad_perm:[3,3,3,3] row_mask:0xf bank_mask:0xf// 000000007C44: 0B1716FA FF00FFFA
	v_mul_f32_dpp v140, v251, v140 quad_perm:[0,0,0,0] row_mask:0xf bank_mask:0xf// 000000007C4C: 0B1918FA FF0000FB
	v_mul_f32_dpp v141, v251, v141 quad_perm:[1,1,1,1] row_mask:0xf bank_mask:0xf// 000000007C54: 0B1B1AFA FF0055FB
	v_mul_f32_dpp v142, v251, v142 quad_perm:[2,2,2,2] row_mask:0xf bank_mask:0xf// 000000007C5C: 0B1D1CFA FF00AAFB
	v_mul_f32_dpp v143, v251, v143 quad_perm:[3,3,3,3] row_mask:0xf bank_mask:0xf// 000000007C64: 0B1F1EFA FF00FFFB
	buffer_load_dwordx4 a[52:55], v31, s[16:19], 0 offen offset:1024// 000000007C6C: E05C1400 8084341F
	s_cmp_le_i32 s90, s89                                      // 000000007C74: BF05595A
	s_cbranch_scc1 label_1712                                  // 000000007C78: BF850073
	v_mov_b32_e32 v69, 0xff800000                              // 000000007C7C: 7E8A02FF FF800000
	s_mov_b32 s60, s90                                         // 000000007C84: BEBC005A
	s_add_u32 s61, s89, 0xff                                   // 000000007C88: 803DFF59 000000FF
	v_mov_b32_e32 v41, s61                                     // 000000007C90: 7E52023D
	v_lshrrev_b32_e32 v240, 4, v0                              // 000000007C94: 21E00084
	v_mul_i32_i24_e32 v240, 4, v240                            // 000000007C98: 0DE1E084
	v_add_u32_e32 v240, s60, v240                              // 000000007C9C: 69E1E03C
	v_and_b32_e32 v42, 15, v0                                  // 000000007CA0: 2654008F
	v_lshrrev_b32_e32 v42, 3, v42                              // 000000007CA4: 20545483
	s_mov_b32 s61, 0                                           // 000000007CA8: BEBD0080
	s_mul_i32 s60, 16, s7                                      // 000000007CAC: 923C0790
	v_add_u32_e32 v42, s61, v42                                // 000000007CB0: 6854543D
	v_sub_u32_e32 v240, v240, v42                              // 000000007CB4: 6BE055F0
	v_add_u32_e32 v240, s60, v240                              // 000000007CB8: 69E1E03C
	v_add_u32_e32 v241, 1, v240                                // 000000007CBC: 69E3E081
	v_add_u32_e32 v242, 2, v240                                // 000000007CC0: 69E5E082
	v_add_u32_e32 v243, 3, v240                                // 000000007CC4: 69E7E083
	v_cmp_le_u32_e64 s[40:41], v240, v41                       // 000000007CC8: D0CB0028 000253F0
	v_add_u32_e32 v240, 64, v240                               // 000000007CD0: 69E1E0C0
	s_nop 0                                                    // 000000007CD4: BF800000
	v_cndmask_b32_e64 v128, v69, v128, s[40:41]                // 000000007CD8: D1000080 00A30145
	v_cmp_le_u32_e64 s[40:41], v241, v41                       // 000000007CE0: D0CB0028 000253F1
	v_add_u32_e32 v241, 64, v241                               // 000000007CE8: 69E3E2C0
	s_nop 0                                                    // 000000007CEC: BF800000
	v_cndmask_b32_e64 v129, v69, v129, s[40:41]                // 000000007CF0: D1000081 00A30345
	v_cmp_le_u32_e64 s[40:41], v242, v41                       // 000000007CF8: D0CB0028 000253F2
	v_add_u32_e32 v242, 64, v242                               // 000000007D00: 69E5E4C0
	s_nop 0                                                    // 000000007D04: BF800000
	v_cndmask_b32_e64 v130, v69, v130, s[40:41]                // 000000007D08: D1000082 00A30545
	v_cmp_le_u32_e64 s[40:41], v243, v41                       // 000000007D10: D0CB0028 000253F3
	v_add_u32_e32 v243, 64, v243                               // 000000007D18: 69E7E6C0
	s_nop 0                                                    // 000000007D1C: BF800000
	v_cndmask_b32_e64 v131, v69, v131, s[40:41]                // 000000007D20: D1000083 00A30745
	v_cmp_le_u32_e64 s[40:41], v240, v41                       // 000000007D28: D0CB0028 000253F0
	v_add_u32_e32 v240, 64, v240                               // 000000007D30: 69E1E0C0
	s_nop 0                                                    // 000000007D34: BF800000
	v_cndmask_b32_e64 v132, v69, v132, s[40:41]                // 000000007D38: D1000084 00A30945
	v_cmp_le_u32_e64 s[40:41], v241, v41                       // 000000007D40: D0CB0028 000253F1
	v_add_u32_e32 v241, 64, v241                               // 000000007D48: 69E3E2C0
	s_nop 0                                                    // 000000007D4C: BF800000
	v_cndmask_b32_e64 v133, v69, v133, s[40:41]                // 000000007D50: D1000085 00A30B45
	v_cmp_le_u32_e64 s[40:41], v242, v41                       // 000000007D58: D0CB0028 000253F2
	v_add_u32_e32 v242, 64, v242                               // 000000007D60: 69E5E4C0
	s_nop 0                                                    // 000000007D64: BF800000
	v_cndmask_b32_e64 v134, v69, v134, s[40:41]                // 000000007D68: D1000086 00A30D45
	v_cmp_le_u32_e64 s[40:41], v243, v41                       // 000000007D70: D0CB0028 000253F3
	v_add_u32_e32 v243, 64, v243                               // 000000007D78: 69E7E6C0
	s_nop 0                                                    // 000000007D7C: BF800000
	v_cndmask_b32_e64 v135, v69, v135, s[40:41]                // 000000007D80: D1000087 00A30F45
	v_cmp_le_u32_e64 s[40:41], v240, v41                       // 000000007D88: D0CB0028 000253F0
	v_add_u32_e32 v240, 64, v240                               // 000000007D90: 69E1E0C0
	s_nop 0                                                    // 000000007D94: BF800000
	v_cndmask_b32_e64 v136, v69, v136, s[40:41]                // 000000007D98: D1000088 00A31145
	v_cmp_le_u32_e64 s[40:41], v241, v41                       // 000000007DA0: D0CB0028 000253F1
	v_add_u32_e32 v241, 64, v241                               // 000000007DA8: 69E3E2C0
	s_nop 0                                                    // 000000007DAC: BF800000
	v_cndmask_b32_e64 v137, v69, v137, s[40:41]                // 000000007DB0: D1000089 00A31345
	v_cmp_le_u32_e64 s[40:41], v242, v41                       // 000000007DB8: D0CB0028 000253F2
	v_add_u32_e32 v242, 64, v242                               // 000000007DC0: 69E5E4C0
	s_nop 0                                                    // 000000007DC4: BF800000
	v_cndmask_b32_e64 v138, v69, v138, s[40:41]                // 000000007DC8: D100008A 00A31545
	v_cmp_le_u32_e64 s[40:41], v243, v41                       // 000000007DD0: D0CB0028 000253F3
	v_add_u32_e32 v243, 64, v243                               // 000000007DD8: 69E7E6C0
	s_nop 0                                                    // 000000007DDC: BF800000
	v_cndmask_b32_e64 v139, v69, v139, s[40:41]                // 000000007DE0: D100008B 00A31745
	v_cmp_le_u32_e64 s[40:41], v240, v41                       // 000000007DE8: D0CB0028 000253F0
	v_add_u32_e32 v240, 64, v240                               // 000000007DF0: 69E1E0C0
	s_nop 0                                                    // 000000007DF4: BF800000
	v_cndmask_b32_e64 v140, v69, v140, s[40:41]                // 000000007DF8: D100008C 00A31945
	v_cmp_le_u32_e64 s[40:41], v241, v41                       // 000000007E00: D0CB0028 000253F1
	v_add_u32_e32 v241, 64, v241                               // 000000007E08: 69E3E2C0
	s_nop 0                                                    // 000000007E0C: BF800000
	v_cndmask_b32_e64 v141, v69, v141, s[40:41]                // 000000007E10: D100008D 00A31B45
	v_cmp_le_u32_e64 s[40:41], v242, v41                       // 000000007E18: D0CB0028 000253F2
	v_add_u32_e32 v242, 64, v242                               // 000000007E20: 69E5E4C0
	s_nop 0                                                    // 000000007E24: BF800000
	v_cndmask_b32_e64 v142, v69, v142, s[40:41]                // 000000007E28: D100008E 00A31D45
	v_cmp_le_u32_e64 s[40:41], v243, v41                       // 000000007E30: D0CB0028 000253F3
	v_add_u32_e32 v243, 64, v243                               // 000000007E38: 69E7E6C0
	s_nop 0                                                    // 000000007E3C: BF800000
	v_cndmask_b32_e64 v143, v69, v143, s[40:41]                // 000000007E40: D100008F 00A31F45

0000000000007e48 <label_1712>:
	s_add_u32 s90, s91, s90                                    // 000000007E48: 805A5A5B
	v_mov_b32_e32 v62, v128                                    // 000000007E4C: 7E7C0380
	v_max3_f32 v62, v128, v129, v62                            // 000000007E50: D1D3003E 04FB0380
	v_max3_f32 v62, v130, v131, v62                            // 000000007E58: D1D3003E 04FB0782
	v_max3_f32 v62, v132, v133, v62                            // 000000007E60: D1D3003E 04FB0B84
	v_max3_f32 v62, v134, v135, v62                            // 000000007E68: D1D3003E 04FB0F86
	v_max3_f32 v62, v136, v137, v62                            // 000000007E70: D1D3003E 04FB1388
	v_max3_f32 v62, v138, v139, v62                            // 000000007E78: D1D3003E 04FB178A
	v_max3_f32 v62, v140, v141, v62                            // 000000007E80: D1D3003E 04FB1B8C
	v_max3_f32 v62, v142, v143, v62                            // 000000007E88: D1D3003E 04FB1F8E
	ds_write_b32 v11, v62 offset:16896                         // 000000007E90: D81A4200 00003E0B
	buffer_load_dwordx4 a[56:59], v32, s[16:19], 0 offen       // 000000007E98: E05C1000 80843820
	v_mul_u32_u24_dpp v41, v20, v68 row_newbcast:1 row_mask:0xf bank_mask:0xf// 000000007EA0: 105288FA FF015114
	v_mul_u32_u24_dpp v42, v20, v68 row_newbcast:5 row_mask:0xf bank_mask:0xf// 000000007EA8: 105488FA FF015514
	v_mul_u32_u24_dpp v43, v20, v68 row_newbcast:9 row_mask:0xf bank_mask:0xf// 000000007EB0: 105688FA FF015914
	v_mul_u32_u24_dpp v44, v20, v68 row_newbcast:13 row_mask:0xf bank_mask:0xf// 000000007EB8: 105888FA FF015D14
	v_add_u32_e32 v37, v41, v7                                 // 000000007EC0: 684A0F29
	v_add_u32_e32 v38, v42, v7                                 // 000000007EC4: 684C0F2A
	v_add_u32_e32 v39, v43, v7                                 // 000000007EC8: 684E0F2B
	v_add_u32_e32 v40, v44, v7                                 // 000000007ECC: 68500F2C
	v_mul_f32_e32 v224, v63, v224                              // 000000007ED0: 0BC1C13F
	v_mul_f32_e32 v225, v63, v225                              // 000000007ED4: 0BC3C33F
	v_mul_f32_e32 v226, v63, v226                              // 000000007ED8: 0BC5C53F
	v_mul_f32_e32 v227, v63, v227                              // 000000007EDC: 0BC7C73F
	v_mul_f32_e32 v228, v63, v228                              // 000000007EE0: 0BC9C93F
	v_mul_f32_e32 v229, v63, v229                              // 000000007EE4: 0BCBCB3F
	v_mul_f32_e32 v230, v63, v230                              // 000000007EE8: 0BCDCD3F
	v_mul_f32_e32 v231, v63, v231                              // 000000007EEC: 0BCFCF3F
	s_waitcnt lgkmcnt(0)                                       // 000000007EF0: BF8CC07F
	s_barrier                                                  // 000000007EF4: BF8A0000
	ds_read_b32 v80, v10 offset:16896                          // 000000007EF8: D86C4200 5000000A
	ds_read_b32 v81, v10 offset:16960                          // 000000007F00: D86C4240 5100000A
	ds_read_b32 v82, v10 offset:17024                          // 000000007F08: D86C4280 5200000A
	ds_read_b32 v83, v10 offset:17088                          // 000000007F10: D86C42C0 5300000A
	ds_read_b32 v84, v10 offset:17152                          // 000000007F18: D86C4300 5400000A
	ds_read_b32 v85, v10 offset:17216                          // 000000007F20: D86C4340 5500000A
	ds_read_b32 v86, v10 offset:17280                          // 000000007F28: D86C4380 5600000A
	ds_read_b32 v87, v10 offset:17344                          // 000000007F30: D86C43C0 5700000A
	ds_read_b32 v88, v10 offset:17408                          // 000000007F38: D86C4400 5800000A
	ds_read_b32 v89, v10 offset:17472                          // 000000007F40: D86C4440 5900000A
	ds_read_b32 v90, v10 offset:17536                          // 000000007F48: D86C4480 5A00000A
	ds_read_b32 v91, v10 offset:17600                          // 000000007F50: D86C44C0 5B00000A
	ds_read_b32 v92, v10 offset:17664                          // 000000007F58: D86C4500 5C00000A
	ds_read_b32 v93, v10 offset:17728                          // 000000007F60: D86C4540 5D00000A
	ds_read_b32 v94, v10 offset:17792                          // 000000007F68: D86C4580 5E00000A
	ds_read_b32 v95, v10 offset:17856                          // 000000007F70: D86C45C0 5F00000A
	buffer_load_dwordx4 a[60:63], v32, s[16:19], 0 offen offset:1024// 000000007F78: E05C1400 80843C20
	v_cvt_f32_i32_e32 v192, v192                               // 000000007F80: 7F800BC0
	v_cvt_f32_i32_e32 v193, v193                               // 000000007F84: 7F820BC1
	v_cvt_f32_i32_e32 v194, v194                               // 000000007F88: 7F840BC2
	v_cvt_f32_i32_e32 v195, v195                               // 000000007F8C: 7F860BC3
	v_cvt_f32_i32_e32 v196, v196                               // 000000007F90: 7F880BC4
	v_cvt_f32_i32_e32 v197, v197                               // 000000007F94: 7F8A0BC5
	v_cvt_f32_i32_e32 v198, v198                               // 000000007F98: 7F8C0BC6
	v_cvt_f32_i32_e32 v199, v199                               // 000000007F9C: 7F8E0BC7
	v_mul_f32_e32 v192, v58, v192                              // 000000007FA0: 0B81813A
	v_mul_f32_e32 v193, v58, v193                              // 000000007FA4: 0B83833A
	v_mul_f32_e32 v194, v58, v194                              // 000000007FA8: 0B85853A
	v_mul_f32_e32 v195, v58, v195                              // 000000007FAC: 0B87873A
	v_mul_f32_e32 v196, v58, v196                              // 000000007FB0: 0B89893A
	v_mul_f32_e32 v197, v58, v197                              // 000000007FB4: 0B8B8B3A
	v_mul_f32_e32 v198, v58, v198                              // 000000007FB8: 0B8D8D3A
	v_mul_f32_e32 v199, v58, v199                              // 000000007FBC: 0B8F8F3A
	s_waitcnt lgkmcnt(0)                                       // 000000007FC0: BF8CC07F
	v_max3_f32 v62, v80, v81, v62                              // 000000007FC4: D1D3003E 04FAA350
	v_max3_f32 v62, v82, v83, v62                              // 000000007FCC: D1D3003E 04FAA752
	v_max3_f32 v62, v84, v85, v62                              // 000000007FD4: D1D3003E 04FAAB54
	v_max3_f32 v62, v86, v87, v62                              // 000000007FDC: D1D3003E 04FAAF56
	v_max3_f32 v62, v88, v89, v62                              // 000000007FE4: D1D3003E 04FAB358
	v_max3_f32 v62, v90, v91, v62                              // 000000007FEC: D1D3003E 04FAB75A
	v_max3_f32 v62, v92, v93, v62                              // 000000007FF4: D1D3003E 04FABB5C
	v_max3_f32 v62, v94, v95, v62                              // 000000007FFC: D1D3003E 04FABF5E
	buffer_load_dwordx4 a[96:99], v37, s[20:23], 0 offen       // 000000008004: E05C1000 80856025
	v_mov_b32_e32 v41, 0xff800000                              // 00000000800C: 7E5202FF FF800000
	v_cmp_eq_u32_e64 s[40:41], v41, v14                        // 000000008014: D0CA0028 00021D29
	s_nop 1                                                    // 00000000801C: BF800001
	v_max_f32_e32 v18, v62, v14                                // 000000008020: 16241D3E
	v_mul_f32_e32 v67, s64, v18                                // 000000008024: 0A862440
	v_fma_f32 v128, v128, s64, -v67                            // 000000008028: D1CB0080 850C8180
	v_fma_f32 v129, v129, s64, -v67                            // 000000008030: D1CB0081 850C8181
	v_fma_f32 v130, v130, s64, -v67                            // 000000008038: D1CB0082 850C8182
	v_fma_f32 v131, v131, s64, -v67                            // 000000008040: D1CB0083 850C8183
	v_fma_f32 v132, v132, s64, -v67                            // 000000008048: D1CB0084 850C8184
	v_fma_f32 v133, v133, s64, -v67                            // 000000008050: D1CB0085 850C8185
	v_fma_f32 v134, v134, s64, -v67                            // 000000008058: D1CB0086 850C8186
	v_fma_f32 v135, v135, s64, -v67                            // 000000008060: D1CB0087 850C8187
	v_fma_f32 v136, v136, s64, -v67                            // 000000008068: D1CB0088 850C8188
	v_fma_f32 v137, v137, s64, -v67                            // 000000008070: D1CB0089 850C8189
	v_fma_f32 v138, v138, s64, -v67                            // 000000008078: D1CB008A 850C818A
	v_fma_f32 v139, v139, s64, -v67                            // 000000008080: D1CB008B 850C818B
	v_fma_f32 v140, v140, s64, -v67                            // 000000008088: D1CB008C 850C818C
	v_fma_f32 v141, v141, s64, -v67                            // 000000008090: D1CB008D 850C818D
	v_fma_f32 v142, v142, s64, -v67                            // 000000008098: D1CB008E 850C818E
	v_fma_f32 v143, v143, s64, -v67                            // 0000000080A0: D1CB008F 850C818F
	buffer_load_dwordx4 a[100:103], v38, s[20:23], 0 offen     // 0000000080A8: E05C1000 80856426
	v_exp_f32_e32 v128, v128                                   // 0000000080B0: 7F004180
	v_exp_f32_e32 v129, v129                                   // 0000000080B4: 7F024181
	v_exp_f32_e32 v130, v130                                   // 0000000080B8: 7F044182
	v_exp_f32_e32 v131, v131                                   // 0000000080BC: 7F064183
	v_exp_f32_e32 v132, v132                                   // 0000000080C0: 7F084184
	v_exp_f32_e32 v133, v133                                   // 0000000080C4: 7F0A4185
	v_exp_f32_e32 v134, v134                                   // 0000000080C8: 7F0C4186
	v_exp_f32_e32 v135, v135                                   // 0000000080CC: 7F0E4187
	v_exp_f32_e32 v136, v136                                   // 0000000080D0: 7F104188
	v_exp_f32_e32 v137, v137                                   // 0000000080D4: 7F124189
	v_exp_f32_e32 v138, v138                                   // 0000000080D8: 7F14418A
	v_exp_f32_e32 v139, v139                                   // 0000000080DC: 7F16418B
	v_exp_f32_e32 v140, v140                                   // 0000000080E0: 7F18418C
	v_exp_f32_e32 v141, v141                                   // 0000000080E4: 7F1A418D
	v_exp_f32_e32 v142, v142                                   // 0000000080E8: 7F1C418E
	v_exp_f32_e32 v143, v143                                   // 0000000080EC: 7F1E418F
	buffer_load_dwordx4 a[104:107], v39, s[20:23], 0 offen     // 0000000080F0: E05C1000 80856827
	v_mul_f32_dpp v240, v252, v128 quad_perm:[0,0,0,0] row_mask:0xf bank_mask:0xf// 0000000080F8: 0BE100FA FF0000FC
	v_mul_f32_dpp v241, v252, v129 quad_perm:[1,1,1,1] row_mask:0xf bank_mask:0xf// 000000008100: 0BE302FA FF0055FC
	v_mul_f32_dpp v242, v252, v130 quad_perm:[2,2,2,2] row_mask:0xf bank_mask:0xf// 000000008108: 0BE504FA FF00AAFC
	v_mul_f32_dpp v243, v252, v131 quad_perm:[3,3,3,3] row_mask:0xf bank_mask:0xf// 000000008110: 0BE706FA FF00FFFC
	v_mul_f32_dpp v244, v253, v132 quad_perm:[0,0,0,0] row_mask:0xf bank_mask:0xf// 000000008118: 0BE908FA FF0000FD
	v_mul_f32_dpp v245, v253, v133 quad_perm:[1,1,1,1] row_mask:0xf bank_mask:0xf// 000000008120: 0BEB0AFA FF0055FD
	v_mul_f32_dpp v246, v253, v134 quad_perm:[2,2,2,2] row_mask:0xf bank_mask:0xf// 000000008128: 0BED0CFA FF00AAFD
	v_mul_f32_dpp v247, v253, v135 quad_perm:[3,3,3,3] row_mask:0xf bank_mask:0xf// 000000008130: 0BEF0EFA FF00FFFD
	v_mul_f32_dpp v248, v254, v136 quad_perm:[0,0,0,0] row_mask:0xf bank_mask:0xf// 000000008138: 0BF110FA FF0000FE
	v_mul_f32_dpp v249, v254, v137 quad_perm:[1,1,1,1] row_mask:0xf bank_mask:0xf// 000000008140: 0BF312FA FF0055FE
	v_mul_f32_dpp v250, v254, v138 quad_perm:[2,2,2,2] row_mask:0xf bank_mask:0xf// 000000008148: 0BF514FA FF00AAFE
	v_mul_f32_dpp v251, v254, v139 quad_perm:[3,3,3,3] row_mask:0xf bank_mask:0xf// 000000008150: 0BF716FA FF00FFFE
	v_mul_f32_dpp v252, v255, v140 quad_perm:[0,0,0,0] row_mask:0xf bank_mask:0xf// 000000008158: 0BF918FA FF0000FF
	v_mul_f32_dpp v253, v255, v141 quad_perm:[1,1,1,1] row_mask:0xf bank_mask:0xf// 000000008160: 0BFB1AFA FF0055FF
	v_mul_f32_dpp v254, v255, v142 quad_perm:[2,2,2,2] row_mask:0xf bank_mask:0xf// 000000008168: 0BFD1CFA FF00AAFF
	v_mul_f32_dpp v255, v255, v143 quad_perm:[3,3,3,3] row_mask:0xf bank_mask:0xf// 000000008170: 0BFF1EFA FF00FFFF
	v_mov_b32_e32 v62, 0x358637bd                              // 000000008178: 7E7C02FF 358637BD
	v_max3_f32 v62, |v240|, |v241|, v62                        // 000000008180: D1D3033E 04FBE3F0
	v_max3_f32 v62, |v242|, |v243|, v62                        // 000000008188: D1D3033E 04FBE7F2
	v_max3_f32 v62, |v244|, |v245|, v62                        // 000000008190: D1D3033E 04FBEBF4
	v_max3_f32 v62, |v246|, |v247|, v62                        // 000000008198: D1D3033E 04FBEFF6
	v_max3_f32 v62, |v248|, |v249|, v62                        // 0000000081A0: D1D3033E 04FBF3F8
	v_max3_f32 v62, |v250|, |v251|, v62                        // 0000000081A8: D1D3033E 04FBF7FA
	v_max3_f32 v62, |v252|, |v253|, v62                        // 0000000081B0: D1D3033E 04FBFBFC
	v_max3_f32 v62, |v254|, |v255|, v62                        // 0000000081B8: D1D3033E 04FBFFFE
	buffer_load_dwordx4 a[108:111], v40, s[20:23], 0 offen     // 0000000081C0: E05C1000 80856C28
	ds_write_b32 v11, v62 offset:20992                         // 0000000081C8: D81A5200 00003E0B
	v_sub_f32_e32 v63, v14, v18                                // 0000000081D0: 047E250E
	v_cndmask_b32_e64 v63, v63, 0, s[40:41]                    // 0000000081D4: D100003F 00A1013F
	v_mov_b32_e32 v14, v18                                     // 0000000081DC: 7E1C0312
	v_mul_f32_e32 v63, s64, v63                                // 0000000081E0: 0A7E7E40
	v_exp_f32_e32 v63, v63                                     // 0000000081E4: 7E7E413F
	s_waitcnt lgkmcnt(0)                                       // 0000000081E8: BF8CC07F
	s_barrier                                                  // 0000000081EC: BF8A0000
	ds_read_b32 v80, v10 offset:20992                          // 0000000081F0: D86C5200 5000000A
	ds_read_b32 v81, v10 offset:21056                          // 0000000081F8: D86C5240 5100000A
	ds_read_b32 v82, v10 offset:21120                          // 000000008200: D86C5280 5200000A
	ds_read_b32 v83, v10 offset:21184                          // 000000008208: D86C52C0 5300000A
	ds_read_b32 v84, v10 offset:21248                          // 000000008210: D86C5300 5400000A
	ds_read_b32 v85, v10 offset:21312                          // 000000008218: D86C5340 5500000A
	ds_read_b32 v86, v10 offset:21376                          // 000000008220: D86C5380 5600000A
	ds_read_b32 v87, v10 offset:21440                          // 000000008228: D86C53C0 5700000A
	ds_read_b32 v88, v10 offset:21504                          // 000000008230: D86C5400 5800000A
	ds_read_b32 v89, v10 offset:21568                          // 000000008238: D86C5440 5900000A
	ds_read_b32 v90, v10 offset:21632                          // 000000008240: D86C5480 5A00000A
	ds_read_b32 v91, v10 offset:21696                          // 000000008248: D86C54C0 5B00000A
	ds_read_b32 v92, v10 offset:21760                          // 000000008250: D86C5500 5C00000A
	ds_read_b32 v93, v10 offset:21824                          // 000000008258: D86C5540 5D00000A
	ds_read_b32 v94, v10 offset:21888                          // 000000008260: D86C5580 5E00000A
	ds_read_b32 v95, v10 offset:21952                          // 000000008268: D86C55C0 5F00000A
	v_mul_f32_e32 v47, v63, v47                                // 000000008270: 0A5E5F3F
	v_mov_b32_e32 v18, v128                                    // 000000008274: 7E240380
	v_add_f32_e32 v18, v129, v18                               // 000000008278: 02242581
	v_add_f32_e32 v18, v130, v18                               // 00000000827C: 02242582
	v_add_f32_e32 v18, v131, v18                               // 000000008280: 02242583
	v_add_f32_e32 v18, v132, v18                               // 000000008284: 02242584
	;; [unrolled: 1-line block ×3, first 2 shown]
	v_add_f32_e32 v18, v134, v18                               // 00000000828C: 02242586
	v_add_f32_e32 v18, v135, v18                               // 000000008290: 02242587
	v_add_f32_e32 v18, v136, v18                               // 000000008294: 02242588
	;; [unrolled: 1-line block ×3, first 2 shown]
	v_add_f32_e32 v18, v138, v18                               // 00000000829C: 0224258A
	v_add_f32_e32 v18, v139, v18                               // 0000000082A0: 0224258B
	v_add_f32_e32 v18, v140, v18                               // 0000000082A4: 0224258C
	v_add_f32_e32 v18, v141, v18                               // 0000000082A8: 0224258D
	v_add_f32_e32 v18, v142, v18                               // 0000000082AC: 0224258E
	v_add_f32_e32 v18, v143, v18                               // 0000000082B0: 0224258F
	v_add_f32_e32 v47, v18, v47                                // 0000000082B4: 025E5F12
	s_waitcnt lgkmcnt(0)                                       // 0000000082B8: BF8CC07F
	v_max3_f32 v62, |v80|, |v81|, v62                          // 0000000082BC: D1D3033E 04FAA350
	v_max3_f32 v62, |v82|, |v83|, v62                          // 0000000082C4: D1D3033E 04FAA752
	v_max3_f32 v62, |v84|, |v85|, v62                          // 0000000082CC: D1D3033E 04FAAB54
	v_max3_f32 v62, |v86|, |v87|, v62                          // 0000000082D4: D1D3033E 04FAAF56
	v_max3_f32 v62, |v88|, |v89|, v62                          // 0000000082DC: D1D3033E 04FAB358
	v_max3_f32 v62, |v90|, |v91|, v62                          // 0000000082E4: D1D3033E 04FAB75A
	v_max3_f32 v62, |v92|, |v93|, v62                          // 0000000082EC: D1D3033E 04FABB5C
	v_max3_f32 v62, |v94|, |v95|, v62                          // 0000000082F4: D1D3033E 04FABF5E
	s_nop 2                                                    // 0000000082FC: BF800002
	v_rcp_f32_e32 v62, v62                                     // 000000008300: 7E7C453E
	s_nop 1                                                    // 000000008304: BF800001
	v_mul_f32_e32 v62, 0x42fe0000, v62                         // 000000008308: 0A7C7CFF 42FE0000
	v_mul_f32_e32 v128, v62, v240                              // 000000008310: 0B01E13E
	v_mul_f32_e32 v129, v62, v241                              // 000000008314: 0B03E33E
	v_mul_f32_e32 v130, v62, v242                              // 000000008318: 0B05E53E
	v_mul_f32_e32 v131, v62, v243                              // 00000000831C: 0B07E73E
	v_mul_f32_e32 v132, v62, v244                              // 000000008320: 0B09E93E
	v_mul_f32_e32 v133, v62, v245                              // 000000008324: 0B0BEB3E
	v_mul_f32_e32 v134, v62, v246                              // 000000008328: 0B0DED3E
	v_mul_f32_e32 v135, v62, v247                              // 00000000832C: 0B0FEF3E
	v_mul_f32_e32 v136, v62, v248                              // 000000008330: 0B11F13E
	v_mul_f32_e32 v137, v62, v249                              // 000000008334: 0B13F33E
	v_mul_f32_e32 v138, v62, v250                              // 000000008338: 0B15F53E
	v_mul_f32_e32 v139, v62, v251                              // 00000000833C: 0B17F73E
	v_mul_f32_e32 v140, v62, v252                              // 000000008340: 0B19F93E
	v_mul_f32_e32 v141, v62, v253                              // 000000008344: 0B1BFB3E
	v_mul_f32_e32 v142, v62, v254                              // 000000008348: 0B1DFD3E
	v_mul_f32_e32 v143, v62, v255                              // 00000000834C: 0B1FFF3E
	v_cvt_i32_f32_e32 v128, v128                               // 000000008350: 7F001180
	v_cvt_i32_f32_e32 v129, v129                               // 000000008354: 7F021181
	v_cvt_i32_f32_e32 v130, v130                               // 000000008358: 7F041182
	v_cvt_i32_f32_e32 v131, v131                               // 00000000835C: 7F061183
	v_cvt_i32_f32_e32 v132, v132                               // 000000008360: 7F081184
	v_cvt_i32_f32_e32 v133, v133                               // 000000008364: 7F0A1185
	v_cvt_i32_f32_e32 v134, v134                               // 000000008368: 7F0C1186
	v_cvt_i32_f32_e32 v135, v135                               // 00000000836C: 7F0E1187
	v_cvt_i32_f32_e32 v136, v136                               // 000000008370: 7F101188
	v_cvt_i32_f32_e32 v137, v137                               // 000000008374: 7F121189
	v_cvt_i32_f32_e32 v138, v138                               // 000000008378: 7F14118A
	v_cvt_i32_f32_e32 v139, v139                               // 00000000837C: 7F16118B
	v_cvt_i32_f32_e32 v140, v140                               // 000000008380: 7F18118C
	v_cvt_i32_f32_e32 v141, v141                               // 000000008384: 7F1A118D
	v_cvt_i32_f32_e32 v142, v142                               // 000000008388: 7F1C118E
	v_cvt_i32_f32_e32 v143, v143                               // 00000000838C: 7F1E118F
	v_perm_b32 v128, v129, v128, s53                           // 000000008390: D1ED0080 00D70181
	v_perm_b32 v128, v130, v128, s54                           // 000000008398: D1ED0080 00DB0182
	v_perm_b32 v128, v131, v128, s55                           // 0000000083A0: D1ED0080 00DF0183
	v_perm_b32 v129, v133, v132, s53                           // 0000000083A8: D1ED0081 00D70985
	v_perm_b32 v129, v134, v129, s54                           // 0000000083B0: D1ED0081 00DB0386
	v_perm_b32 v129, v135, v129, s55                           // 0000000083B8: D1ED0081 00DF0387
	v_perm_b32 v130, v137, v136, s53                           // 0000000083C0: D1ED0082 00D71189
	v_perm_b32 v130, v138, v130, s54                           // 0000000083C8: D1ED0082 00DB058A
	v_perm_b32 v130, v139, v130, s55                           // 0000000083D0: D1ED0082 00DF058B
	v_perm_b32 v131, v141, v140, s53                           // 0000000083D8: D1ED0083 00D7198D
	v_perm_b32 v131, v142, v131, s54                           // 0000000083E0: D1ED0083 00DB078E
	v_perm_b32 v131, v143, v131, s55                           // 0000000083E8: D1ED0083 00DF078F
	ds_write_b32 v13, v128 offset:25088                        // 0000000083F0: D81A6200 0000800D
	ds_write_b32 v13, v129 offset:26112                        // 0000000083F8: D81A6600 0000810D
	ds_write_b32 v13, v130 offset:27136                        // 000000008400: D81A6A00 0000820D
	ds_write_b32 v13, v131 offset:28160                        // 000000008408: D81A6E00 0000830D
	v_add_f32_e32 v224, v224, v192                             // 000000008410: 03C181E0
	v_add_f32_e32 v225, v225, v193                             // 000000008414: 03C383E1
	v_add_f32_e32 v226, v226, v194                             // 000000008418: 03C585E2
	v_add_f32_e32 v227, v227, v195                             // 00000000841C: 03C787E3
	v_add_f32_e32 v228, v228, v196                             // 000000008420: 03C989E4
	v_add_f32_e32 v229, v229, v197                             // 000000008424: 03CB8BE5
	v_add_f32_e32 v230, v230, v198                             // 000000008428: 03CD8DE6
	v_add_f32_e32 v231, v231, v199                             // 00000000842C: 03CF8FE7
	v_rcp_f32_e32 v58, v62                                     // 000000008430: 7E74453E
	s_waitcnt lgkmcnt(0)                                       // 000000008434: BF8CC07F
	s_barrier                                                  // 000000008438: BF8A0000
	ds_read_b64 v[128:129], v12 offset:25088                   // 00000000843C: D8EC6200 8000000C
	ds_read_b64 v[130:131], v12 offset:25216                   // 000000008444: D8EC6280 8200000C
	ds_read_b64 v[132:133], v12 offset:26112                   // 00000000844C: D8EC6600 8400000C
	ds_read_b64 v[134:135], v12 offset:26240                   // 000000008454: D8EC6680 8600000C
	ds_read_b64 v[136:137], v12 offset:27136                   // 00000000845C: D8EC6A00 8800000C
	ds_read_b64 v[138:139], v12 offset:27264                   // 000000008464: D8EC6A80 8A00000C
	ds_read_b64 v[140:141], v12 offset:28160                   // 00000000846C: D8EC6E00 8C00000C
	ds_read_b64 v[142:143], v12 offset:28288                   // 000000008474: D8EC6E80 8E00000C
	s_waitcnt vmcnt(15)                                        // 00000000847C: BF8C0F7F
	s_waitcnt lgkmcnt(7)                                       // 000000008480: BF8CC77F
	v_mfma_i32_16x16x32_i8 v[192:195], a[64:65], v[128:129], 0 // 000000008484: D3D700C0 0A030140
	buffer_load_dwordx4 a[112:115], v37, s[20:23], 0 offen offset:1024// 00000000848C: E05C1400 80857025
	s_waitcnt lgkmcnt(6)                                       // 000000008494: BF8CC67F
	v_mfma_i32_16x16x32_i8 v[192:195], a[66:67], v[130:131], v[192:195]// 000000008498: D3D700C0 0F030542
	s_waitcnt lgkmcnt(5)                                       // 0000000084A0: BF8CC57F
	v_mfma_i32_16x16x32_i8 v[192:195], a[68:69], v[132:133], v[192:195]// 0000000084A4: D3D700C0 0F030944
	s_waitcnt lgkmcnt(4)                                       // 0000000084AC: BF8CC47F
	v_mfma_i32_16x16x32_i8 v[192:195], a[70:71], v[134:135], v[192:195]// 0000000084B0: D3D700C0 0F030D46
	s_waitcnt lgkmcnt(3)                                       // 0000000084B8: BF8CC37F
	v_mfma_i32_16x16x32_i8 v[192:195], a[72:73], v[136:137], v[192:195]// 0000000084BC: D3D700C0 0F031148
	buffer_load_dwordx4 a[116:119], v38, s[20:23], 0 offen offset:1024// 0000000084C4: E05C1400 80857426
	s_waitcnt lgkmcnt(2)                                       // 0000000084CC: BF8CC27F
	v_mfma_i32_16x16x32_i8 v[192:195], a[74:75], v[138:139], v[192:195]// 0000000084D0: D3D700C0 0F03154A
	s_waitcnt lgkmcnt(1)                                       // 0000000084D8: BF8CC17F
	v_mfma_i32_16x16x32_i8 v[192:195], a[76:77], v[140:141], v[192:195]// 0000000084DC: D3D700C0 0F03194C
	s_waitcnt lgkmcnt(0)                                       // 0000000084E4: BF8CC07F
	v_mfma_i32_16x16x32_i8 v[192:195], a[78:79], v[142:143], v[192:195]// 0000000084E8: D3D700C0 0F031D4E
	v_mfma_i32_16x16x32_i8 v[196:199], a[80:81], v[128:129], 0 // 0000000084F0: D3D700C4 0A030150
	buffer_load_dwordx4 a[120:123], v39, s[20:23], 0 offen offset:1024// 0000000084F8: E05C1400 80857827
	v_mfma_i32_16x16x32_i8 v[196:199], a[82:83], v[130:131], v[196:199]// 000000008500: D3D700C4 0F130552
	v_mfma_i32_16x16x32_i8 v[196:199], a[84:85], v[132:133], v[196:199]// 000000008508: D3D700C4 0F130954
	v_mfma_i32_16x16x32_i8 v[196:199], a[86:87], v[134:135], v[196:199]// 000000008510: D3D700C4 0F130D56
	v_mfma_i32_16x16x32_i8 v[196:199], a[88:89], v[136:137], v[196:199]// 000000008518: D3D700C4 0F131158
	buffer_load_dwordx4 a[124:127], v40, s[20:23], 0 offen offset:1024// 000000008520: E05C1400 80857C28
	v_mfma_i32_16x16x32_i8 v[196:199], a[90:91], v[138:139], v[196:199]// 000000008528: D3D700C4 0F13155A
	v_mfma_i32_16x16x32_i8 v[196:199], a[92:93], v[140:141], v[196:199]// 000000008530: D3D700C4 0F13195C
	s_lshr_b32 s57, s70, 4                                     // 000000008538: 8F398446
	s_add_u32 s57, 48, s57                                     // 00000000853C: 803939B0
	v_mfma_i32_16x16x32_i8 v[196:199], a[94:95], v[142:143], v[196:199]// 000000008540: D3D700C4 0F131D5E
	s_cmp_ge_u32 s57, s73                                      // 000000008548: BF094939
	s_cselect_b32 s56, 0, s56                                  // 00000000854C: 85383880
	v_add_u32_e32 v1, s56, v1                                  // 000000008550: 68020238
	s_addk_i32 s70, 0x100                                      // 000000008554: B7460100
	s_cmp_lt_i32 s70, s71                                      // 000000008558: BF044746
	s_cbranch_scc0 label_15E1                                  // 00000000855C: BF84FD09
	s_waitcnt vmcnt(8) lgkmcnt(0)                              // 000000008560: BF8C0078
	v_mul_u32_u24_dpp v41, v19, v68 row_newbcast:0 row_mask:0xf bank_mask:0xf// 000000008564: 105288FA FF015013
	v_mul_u32_u24_dpp v42, v19, v68 row_newbcast:4 row_mask:0xf bank_mask:0xf// 00000000856C: 105488FA FF015413
	v_mul_u32_u24_dpp v43, v19, v68 row_newbcast:8 row_mask:0xf bank_mask:0xf// 000000008574: 105688FA FF015813
	v_mul_u32_u24_dpp v44, v19, v68 row_newbcast:12 row_mask:0xf bank_mask:0xf// 00000000857C: 105888FA FF015C13
	v_add_u32_e32 v25, v41, v6                                 // 000000008584: 68320D29
	v_add_u32_e32 v26, v42, v6                                 // 000000008588: 68340D2A
	v_add_u32_e32 v27, v43, v6                                 // 00000000858C: 68360D2B
	v_add_u32_e32 v28, v44, v6                                 // 000000008590: 68380D2C
	v_mul_u32_u24_dpp v41, v19, v78 quad_perm:[0,0,0,0] row_mask:0xf bank_mask:0xf// 000000008594: 10529CFA FF000013
	v_add_u32_e32 v2, v41, v74                                 // 00000000859C: 68049529
	v_mul_u32_u24_dpp v41, v19, v78 quad_perm:[0,0,0,0] row_mask:0xf bank_mask:0xf// 0000000085A0: 10529CFA FF000013
	v_add_u32_e32 v70, v41, v75                                // 0000000085A8: 688C9729
	v_mfma_i32_16x16x32_i8 v[128:131], a[32:33], v[96:97], 0   // 0000000085AC: D3D70080 0A02C120
	buffer_load_dwordx4 a[0:3], v25, s[16:19], 0 offen         // 0000000085B4: E05C1000 80840019
	v_mfma_i32_16x16x32_i8 v[128:131], a[34:35], v[98:99], v[128:131]// 0000000085BC: D3D70080 0E02C522
	v_mfma_i32_16x16x32_i8 v[128:131], a[36:37], v[100:101], v[128:131]// 0000000085C4: D3D70080 0E02C924
	buffer_load_dword v20, v1, s[24:27], 0 offen               // 0000000085CC: E0501000 80061401
	v_mfma_i32_16x16x32_i8 v[128:131], a[38:39], v[102:103], v[128:131]// 0000000085D4: D3D70080 0E02CD26
	v_mfma_i32_16x16x32_i8 v[132:135], a[40:41], v[96:97], 0   // 0000000085DC: D3D70084 0A02C128
	buffer_load_dwordx4 a[4:7], v25, s[16:19], 0 offen offset:1024// 0000000085E4: E05C1400 80840419
	v_mfma_i32_16x16x32_i8 v[132:135], a[42:43], v[98:99], v[132:135]// 0000000085EC: D3D70084 0E12C52A
	v_mfma_i32_16x16x32_i8 v[132:135], a[44:45], v[100:101], v[132:135]// 0000000085F4: D3D70084 0E12C92C
	v_mfma_i32_16x16x32_i8 v[132:135], a[46:47], v[102:103], v[132:135]// 0000000085FC: D3D70084 0E12CD2E
	v_mfma_i32_16x16x32_i8 v[136:139], a[48:49], v[96:97], 0   // 000000008604: D3D70088 0A02C130
	buffer_load_dwordx4 a[8:11], v26, s[16:19], 0 offen        // 00000000860C: E05C1000 8084081A
	v_mfma_i32_16x16x32_i8 v[136:139], a[50:51], v[98:99], v[136:139]// 000000008614: D3D70088 0E22C532
	v_mfma_i32_16x16x32_i8 v[136:139], a[52:53], v[100:101], v[136:139]// 00000000861C: D3D70088 0E22C934
	v_mfma_i32_16x16x32_i8 v[136:139], a[54:55], v[102:103], v[136:139]// 000000008624: D3D70088 0E22CD36
	v_mfma_i32_16x16x32_i8 v[140:143], a[56:57], v[96:97], 0   // 00000000862C: D3D7008C 0A02C138
	buffer_load_dwordx4 a[12:15], v26, s[16:19], 0 offen offset:1024// 000000008634: E05C1400 80840C1A
	v_mfma_i32_16x16x32_i8 v[140:143], a[58:59], v[98:99], v[140:143]// 00000000863C: D3D7008C 0E32C53A
	v_mfma_i32_16x16x32_i8 v[140:143], a[60:61], v[100:101], v[140:143]// 000000008644: D3D7008C 0E32C93C
	v_mfma_i32_16x16x32_i8 v[140:143], a[62:63], v[102:103], v[140:143]// 00000000864C: D3D7008C 0E32CD3E
	buffer_load_dword v52, v2, s[32:35], 0 offen               // 000000008654: E0501000 80083402
	v_mov_b32_dpp v41, v53 row_shr:4 row_mask:0xf bank_mask:0xf// 00000000865C: 7E5202FA FF011435
	v_mov_b32_dpp v42, v53 row_shl:4 row_mask:0xf bank_mask:0xf// 000000008664: 7E5402FA FF010435
	v_cndmask_b32_e64 v248, v53, v41, s[44:45]                 // 00000000866C: D10000F8 00B25335
	v_cndmask_b32_e64 v249, v42, v53, s[44:45]                 // 000000008674: D10000F9 00B26B2A
	v_mov_b32_dpp v41, v248 row_shr:8 row_mask:0xf bank_mask:0xf// 00000000867C: 7E5202FA FF0118F8
	v_mov_b32_dpp v42, v248 row_shl:8 row_mask:0xf bank_mask:0xf// 000000008684: 7E5402FA FF0108F8
	v_mov_b32_dpp v43, v249 row_shr:8 row_mask:0xf bank_mask:0xf// 00000000868C: 7E5602FA FF0118F9
	v_mov_b32_dpp v44, v249 row_shl:8 row_mask:0xf bank_mask:0xf// 000000008694: 7E5802FA FF0108F9
	v_mov_b32_e32 v45, v248                                    // 00000000869C: 7E5A03F8
	v_mov_b32_e32 v46, v249                                    // 0000000086A0: 7E5C03F9
	v_cndmask_b32_e64 v248, v45, v41, s[42:43]                 // 0000000086A4: D10000F8 00AA532D
	v_cndmask_b32_e64 v250, v45, v42, s[78:79]                 // 0000000086AC: D10000FA 013A552D
	v_cndmask_b32_e64 v249, v46, v43, s[42:43]                 // 0000000086B4: D10000F9 00AA572E
	v_cndmask_b32_e64 v251, v46, v44, s[78:79]                 // 0000000086BC: D10000FB 013A592E
	v_mov_b32_dpp v41, v73 row_shr:4 row_mask:0xf bank_mask:0xf// 0000000086C4: 7E5202FA FF011449
	v_mov_b32_dpp v42, v73 row_shl:4 row_mask:0xf bank_mask:0xf// 0000000086CC: 7E5402FA FF010449
	v_cndmask_b32_e64 v252, v73, v41, s[44:45]                 // 0000000086D4: D10000FC 00B25349
	v_cndmask_b32_e64 v253, v42, v73, s[44:45]                 // 0000000086DC: D10000FD 00B2932A
	v_mov_b32_dpp v41, v252 row_shr:8 row_mask:0xf bank_mask:0xf// 0000000086E4: 7E5202FA FF0118FC
	v_mov_b32_dpp v42, v252 row_shl:8 row_mask:0xf bank_mask:0xf// 0000000086EC: 7E5402FA FF0108FC
	v_mov_b32_dpp v43, v253 row_shr:8 row_mask:0xf bank_mask:0xf// 0000000086F4: 7E5602FA FF0118FD
	v_mov_b32_dpp v44, v253 row_shl:8 row_mask:0xf bank_mask:0xf// 0000000086FC: 7E5802FA FF0108FD
	v_mov_b32_e32 v45, v252                                    // 000000008704: 7E5A03FC
	v_mov_b32_e32 v46, v253                                    // 000000008708: 7E5C03FD
	v_cndmask_b32_e64 v252, v45, v41, s[42:43]                 // 00000000870C: D10000FC 00AA532D
	v_cndmask_b32_e64 v254, v45, v42, s[78:79]                 // 000000008714: D10000FE 013A552D
	v_cndmask_b32_e64 v253, v46, v43, s[42:43]                 // 00000000871C: D10000FD 00AA572E
	v_cndmask_b32_e64 v255, v46, v44, s[78:79]                 // 000000008724: D10000FF 013A592E
	buffer_load_dword v72, v70, s[36:39], 0 offen              // 00000000872C: E0501000 80094846
	v_cvt_f32_i32_e32 v128, v128                               // 000000008734: 7F000B80
	v_cvt_f32_i32_e32 v129, v129                               // 000000008738: 7F020B81
	v_cvt_f32_i32_e32 v130, v130                               // 00000000873C: 7F040B82
	v_cvt_f32_i32_e32 v131, v131                               // 000000008740: 7F060B83
	v_cvt_f32_i32_e32 v132, v132                               // 000000008744: 7F080B84
	v_cvt_f32_i32_e32 v133, v133                               // 000000008748: 7F0A0B85
	v_cvt_f32_i32_e32 v134, v134                               // 00000000874C: 7F0C0B86
	v_cvt_f32_i32_e32 v135, v135                               // 000000008750: 7F0E0B87
	v_cvt_f32_i32_e32 v136, v136                               // 000000008754: 7F100B88
	v_cvt_f32_i32_e32 v137, v137                               // 000000008758: 7F120B89
	v_cvt_f32_i32_e32 v138, v138                               // 00000000875C: 7F140B8A
	v_cvt_f32_i32_e32 v139, v139                               // 000000008760: 7F160B8B
	v_cvt_f32_i32_e32 v140, v140                               // 000000008764: 7F180B8C
	v_cvt_f32_i32_e32 v141, v141                               // 000000008768: 7F1A0B8D
	v_cvt_f32_i32_e32 v142, v142                               // 00000000876C: 7F1C0B8E
	v_cvt_f32_i32_e32 v143, v143                               // 000000008770: 7F1E0B8F
	v_mul_f32_e32 v128, v54, v128                              // 000000008774: 0B010136
	v_mul_f32_e32 v129, v54, v129                              // 000000008778: 0B030336
	v_mul_f32_e32 v130, v54, v130                              // 00000000877C: 0B050536
	v_mul_f32_e32 v131, v54, v131                              // 000000008780: 0B070736
	v_mul_f32_e32 v132, v54, v132                              // 000000008784: 0B090936
	v_mul_f32_e32 v133, v54, v133                              // 000000008788: 0B0B0B36
	v_mul_f32_e32 v134, v54, v134                              // 00000000878C: 0B0D0D36
	v_mul_f32_e32 v135, v54, v135                              // 000000008790: 0B0F0F36
	v_mul_f32_e32 v136, v54, v136                              // 000000008794: 0B111136
	v_mul_f32_e32 v137, v54, v137                              // 000000008798: 0B131336
	v_mul_f32_e32 v138, v54, v138                              // 00000000879C: 0B151536
	v_mul_f32_e32 v139, v54, v139                              // 0000000087A0: 0B171736
	v_mul_f32_e32 v140, v54, v140                              // 0000000087A4: 0B191936
	v_mul_f32_e32 v141, v54, v141                              // 0000000087A8: 0B1B1B36
	v_mul_f32_e32 v142, v54, v142                              // 0000000087AC: 0B1D1D36
	v_mul_f32_e32 v143, v54, v143                              // 0000000087B0: 0B1F1F36
	buffer_load_dwordx4 a[16:19], v27, s[16:19], 0 offen       // 0000000087B4: E05C1000 8084101B
	v_mul_f32_dpp v128, v248, v128 quad_perm:[0,0,0,0] row_mask:0xf bank_mask:0xf// 0000000087BC: 0B0100FA FF0000F8
	v_mul_f32_dpp v129, v248, v129 quad_perm:[1,1,1,1] row_mask:0xf bank_mask:0xf// 0000000087C4: 0B0302FA FF0055F8
	v_mul_f32_dpp v130, v248, v130 quad_perm:[2,2,2,2] row_mask:0xf bank_mask:0xf// 0000000087CC: 0B0504FA FF00AAF8
	v_mul_f32_dpp v131, v248, v131 quad_perm:[3,3,3,3] row_mask:0xf bank_mask:0xf// 0000000087D4: 0B0706FA FF00FFF8
	v_mul_f32_dpp v132, v249, v132 quad_perm:[0,0,0,0] row_mask:0xf bank_mask:0xf// 0000000087DC: 0B0908FA FF0000F9
	v_mul_f32_dpp v133, v249, v133 quad_perm:[1,1,1,1] row_mask:0xf bank_mask:0xf// 0000000087E4: 0B0B0AFA FF0055F9
	v_mul_f32_dpp v134, v249, v134 quad_perm:[2,2,2,2] row_mask:0xf bank_mask:0xf// 0000000087EC: 0B0D0CFA FF00AAF9
	v_mul_f32_dpp v135, v249, v135 quad_perm:[3,3,3,3] row_mask:0xf bank_mask:0xf// 0000000087F4: 0B0F0EFA FF00FFF9
	v_mul_f32_dpp v136, v250, v136 quad_perm:[0,0,0,0] row_mask:0xf bank_mask:0xf// 0000000087FC: 0B1110FA FF0000FA
	v_mul_f32_dpp v137, v250, v137 quad_perm:[1,1,1,1] row_mask:0xf bank_mask:0xf// 000000008804: 0B1312FA FF0055FA
	v_mul_f32_dpp v138, v250, v138 quad_perm:[2,2,2,2] row_mask:0xf bank_mask:0xf// 00000000880C: 0B1514FA FF00AAFA
	v_mul_f32_dpp v139, v250, v139 quad_perm:[3,3,3,3] row_mask:0xf bank_mask:0xf// 000000008814: 0B1716FA FF00FFFA
	v_mul_f32_dpp v140, v251, v140 quad_perm:[0,0,0,0] row_mask:0xf bank_mask:0xf// 00000000881C: 0B1918FA FF0000FB
	v_mul_f32_dpp v141, v251, v141 quad_perm:[1,1,1,1] row_mask:0xf bank_mask:0xf// 000000008824: 0B1B1AFA FF0055FB
	v_mul_f32_dpp v142, v251, v142 quad_perm:[2,2,2,2] row_mask:0xf bank_mask:0xf// 00000000882C: 0B1D1CFA FF00AAFB
	v_mul_f32_dpp v143, v251, v143 quad_perm:[3,3,3,3] row_mask:0xf bank_mask:0xf// 000000008834: 0B1F1EFA FF00FFFB
	buffer_load_dwordx4 a[20:23], v27, s[16:19], 0 offen offset:1024// 00000000883C: E05C1400 8084141B
	s_cmp_le_i32 s90, s89                                      // 000000008844: BF05595A
	s_cbranch_scc1 label_1A06                                  // 000000008848: BF850073
	v_mov_b32_e32 v69, 0xff800000                              // 00000000884C: 7E8A02FF FF800000
	s_mov_b32 s60, s90                                         // 000000008854: BEBC005A
	s_add_u32 s61, s89, 0xff                                   // 000000008858: 803DFF59 000000FF
	v_mov_b32_e32 v41, s61                                     // 000000008860: 7E52023D
	v_lshrrev_b32_e32 v240, 4, v0                              // 000000008864: 21E00084
	v_mul_i32_i24_e32 v240, 4, v240                            // 000000008868: 0DE1E084
	v_add_u32_e32 v240, s60, v240                              // 00000000886C: 69E1E03C
	v_and_b32_e32 v42, 15, v0                                  // 000000008870: 2654008F
	v_lshrrev_b32_e32 v42, 3, v42                              // 000000008874: 20545483
	s_mov_b32 s61, 0                                           // 000000008878: BEBD0080
	s_mul_i32 s60, 16, s7                                      // 00000000887C: 923C0790
	v_add_u32_e32 v42, s61, v42                                // 000000008880: 6854543D
	v_sub_u32_e32 v240, v240, v42                              // 000000008884: 6BE055F0
	v_add_u32_e32 v240, s60, v240                              // 000000008888: 69E1E03C
	v_add_u32_e32 v241, 1, v240                                // 00000000888C: 69E3E081
	v_add_u32_e32 v242, 2, v240                                // 000000008890: 69E5E082
	v_add_u32_e32 v243, 3, v240                                // 000000008894: 69E7E083
	v_cmp_le_u32_e64 s[40:41], v240, v41                       // 000000008898: D0CB0028 000253F0
	v_add_u32_e32 v240, 64, v240                               // 0000000088A0: 69E1E0C0
	s_nop 0                                                    // 0000000088A4: BF800000
	v_cndmask_b32_e64 v128, v69, v128, s[40:41]                // 0000000088A8: D1000080 00A30145
	v_cmp_le_u32_e64 s[40:41], v241, v41                       // 0000000088B0: D0CB0028 000253F1
	v_add_u32_e32 v241, 64, v241                               // 0000000088B8: 69E3E2C0
	s_nop 0                                                    // 0000000088BC: BF800000
	v_cndmask_b32_e64 v129, v69, v129, s[40:41]                // 0000000088C0: D1000081 00A30345
	v_cmp_le_u32_e64 s[40:41], v242, v41                       // 0000000088C8: D0CB0028 000253F2
	v_add_u32_e32 v242, 64, v242                               // 0000000088D0: 69E5E4C0
	s_nop 0                                                    // 0000000088D4: BF800000
	v_cndmask_b32_e64 v130, v69, v130, s[40:41]                // 0000000088D8: D1000082 00A30545
	v_cmp_le_u32_e64 s[40:41], v243, v41                       // 0000000088E0: D0CB0028 000253F3
	v_add_u32_e32 v243, 64, v243                               // 0000000088E8: 69E7E6C0
	s_nop 0                                                    // 0000000088EC: BF800000
	v_cndmask_b32_e64 v131, v69, v131, s[40:41]                // 0000000088F0: D1000083 00A30745
	v_cmp_le_u32_e64 s[40:41], v240, v41                       // 0000000088F8: D0CB0028 000253F0
	v_add_u32_e32 v240, 64, v240                               // 000000008900: 69E1E0C0
	s_nop 0                                                    // 000000008904: BF800000
	v_cndmask_b32_e64 v132, v69, v132, s[40:41]                // 000000008908: D1000084 00A30945
	v_cmp_le_u32_e64 s[40:41], v241, v41                       // 000000008910: D0CB0028 000253F1
	v_add_u32_e32 v241, 64, v241                               // 000000008918: 69E3E2C0
	s_nop 0                                                    // 00000000891C: BF800000
	v_cndmask_b32_e64 v133, v69, v133, s[40:41]                // 000000008920: D1000085 00A30B45
	v_cmp_le_u32_e64 s[40:41], v242, v41                       // 000000008928: D0CB0028 000253F2
	v_add_u32_e32 v242, 64, v242                               // 000000008930: 69E5E4C0
	s_nop 0                                                    // 000000008934: BF800000
	v_cndmask_b32_e64 v134, v69, v134, s[40:41]                // 000000008938: D1000086 00A30D45
	v_cmp_le_u32_e64 s[40:41], v243, v41                       // 000000008940: D0CB0028 000253F3
	v_add_u32_e32 v243, 64, v243                               // 000000008948: 69E7E6C0
	s_nop 0                                                    // 00000000894C: BF800000
	v_cndmask_b32_e64 v135, v69, v135, s[40:41]                // 000000008950: D1000087 00A30F45
	v_cmp_le_u32_e64 s[40:41], v240, v41                       // 000000008958: D0CB0028 000253F0
	v_add_u32_e32 v240, 64, v240                               // 000000008960: 69E1E0C0
	s_nop 0                                                    // 000000008964: BF800000
	v_cndmask_b32_e64 v136, v69, v136, s[40:41]                // 000000008968: D1000088 00A31145
	v_cmp_le_u32_e64 s[40:41], v241, v41                       // 000000008970: D0CB0028 000253F1
	v_add_u32_e32 v241, 64, v241                               // 000000008978: 69E3E2C0
	s_nop 0                                                    // 00000000897C: BF800000
	v_cndmask_b32_e64 v137, v69, v137, s[40:41]                // 000000008980: D1000089 00A31345
	v_cmp_le_u32_e64 s[40:41], v242, v41                       // 000000008988: D0CB0028 000253F2
	v_add_u32_e32 v242, 64, v242                               // 000000008990: 69E5E4C0
	s_nop 0                                                    // 000000008994: BF800000
	v_cndmask_b32_e64 v138, v69, v138, s[40:41]                // 000000008998: D100008A 00A31545
	v_cmp_le_u32_e64 s[40:41], v243, v41                       // 0000000089A0: D0CB0028 000253F3
	v_add_u32_e32 v243, 64, v243                               // 0000000089A8: 69E7E6C0
	s_nop 0                                                    // 0000000089AC: BF800000
	v_cndmask_b32_e64 v139, v69, v139, s[40:41]                // 0000000089B0: D100008B 00A31745
	v_cmp_le_u32_e64 s[40:41], v240, v41                       // 0000000089B8: D0CB0028 000253F0
	v_add_u32_e32 v240, 64, v240                               // 0000000089C0: 69E1E0C0
	s_nop 0                                                    // 0000000089C4: BF800000
	v_cndmask_b32_e64 v140, v69, v140, s[40:41]                // 0000000089C8: D100008C 00A31945
	v_cmp_le_u32_e64 s[40:41], v241, v41                       // 0000000089D0: D0CB0028 000253F1
	v_add_u32_e32 v241, 64, v241                               // 0000000089D8: 69E3E2C0
	s_nop 0                                                    // 0000000089DC: BF800000
	v_cndmask_b32_e64 v141, v69, v141, s[40:41]                // 0000000089E0: D100008D 00A31B45
	v_cmp_le_u32_e64 s[40:41], v242, v41                       // 0000000089E8: D0CB0028 000253F2
	v_add_u32_e32 v242, 64, v242                               // 0000000089F0: 69E5E4C0
	s_nop 0                                                    // 0000000089F4: BF800000
	v_cndmask_b32_e64 v142, v69, v142, s[40:41]                // 0000000089F8: D100008E 00A31D45
	v_cmp_le_u32_e64 s[40:41], v243, v41                       // 000000008A00: D0CB0028 000253F3
	v_add_u32_e32 v243, 64, v243                               // 000000008A08: 69E7E6C0
	s_nop 0                                                    // 000000008A0C: BF800000
	v_cndmask_b32_e64 v143, v69, v143, s[40:41]                // 000000008A10: D100008F 00A31F45

0000000000008a18 <label_1A06>:
	s_add_u32 s90, s91, s90                                    // 000000008A18: 805A5A5B
	v_mov_b32_e32 v62, v128                                    // 000000008A1C: 7E7C0380
	v_max3_f32 v62, v128, v129, v62                            // 000000008A20: D1D3003E 04FB0380
	v_max3_f32 v62, v130, v131, v62                            // 000000008A28: D1D3003E 04FB0782
	v_max3_f32 v62, v132, v133, v62                            // 000000008A30: D1D3003E 04FB0B84
	v_max3_f32 v62, v134, v135, v62                            // 000000008A38: D1D3003E 04FB0F86
	v_max3_f32 v62, v136, v137, v62                            // 000000008A40: D1D3003E 04FB1388
	v_max3_f32 v62, v138, v139, v62                            // 000000008A48: D1D3003E 04FB178A
	v_max3_f32 v62, v140, v141, v62                            // 000000008A50: D1D3003E 04FB1B8C
	v_max3_f32 v62, v142, v143, v62                            // 000000008A58: D1D3003E 04FB1F8E
	ds_write_b32 v11, v62 offset:16896                         // 000000008A60: D81A4200 00003E0B
	buffer_load_dwordx4 a[24:27], v28, s[16:19], 0 offen       // 000000008A68: E05C1000 8084181C
	v_mul_u32_u24_dpp v41, v19, v68 row_newbcast:1 row_mask:0xf bank_mask:0xf// 000000008A70: 105288FA FF015113
	v_mul_u32_u24_dpp v42, v19, v68 row_newbcast:5 row_mask:0xf bank_mask:0xf// 000000008A78: 105488FA FF015513
	v_mul_u32_u24_dpp v43, v19, v68 row_newbcast:9 row_mask:0xf bank_mask:0xf// 000000008A80: 105688FA FF015913
	v_mul_u32_u24_dpp v44, v19, v68 row_newbcast:13 row_mask:0xf bank_mask:0xf// 000000008A88: 105888FA FF015D13
	v_add_u32_e32 v33, v41, v7                                 // 000000008A90: 68420F29
	v_add_u32_e32 v34, v42, v7                                 // 000000008A94: 68440F2A
	v_add_u32_e32 v35, v43, v7                                 // 000000008A98: 68460F2B
	v_add_u32_e32 v36, v44, v7                                 // 000000008A9C: 68480F2C
	v_mul_f32_e32 v224, v63, v224                              // 000000008AA0: 0BC1C13F
	v_mul_f32_e32 v225, v63, v225                              // 000000008AA4: 0BC3C33F
	v_mul_f32_e32 v226, v63, v226                              // 000000008AA8: 0BC5C53F
	v_mul_f32_e32 v227, v63, v227                              // 000000008AAC: 0BC7C73F
	v_mul_f32_e32 v228, v63, v228                              // 000000008AB0: 0BC9C93F
	v_mul_f32_e32 v229, v63, v229                              // 000000008AB4: 0BCBCB3F
	v_mul_f32_e32 v230, v63, v230                              // 000000008AB8: 0BCDCD3F
	v_mul_f32_e32 v231, v63, v231                              // 000000008ABC: 0BCFCF3F
	s_waitcnt lgkmcnt(0)                                       // 000000008AC0: BF8CC07F
	s_barrier                                                  // 000000008AC4: BF8A0000
	ds_read_b32 v80, v10 offset:16896                          // 000000008AC8: D86C4200 5000000A
	ds_read_b32 v81, v10 offset:16960                          // 000000008AD0: D86C4240 5100000A
	ds_read_b32 v82, v10 offset:17024                          // 000000008AD8: D86C4280 5200000A
	ds_read_b32 v83, v10 offset:17088                          // 000000008AE0: D86C42C0 5300000A
	ds_read_b32 v84, v10 offset:17152                          // 000000008AE8: D86C4300 5400000A
	ds_read_b32 v85, v10 offset:17216                          // 000000008AF0: D86C4340 5500000A
	ds_read_b32 v86, v10 offset:17280                          // 000000008AF8: D86C4380 5600000A
	ds_read_b32 v87, v10 offset:17344                          // 000000008B00: D86C43C0 5700000A
	ds_read_b32 v88, v10 offset:17408                          // 000000008B08: D86C4400 5800000A
	ds_read_b32 v89, v10 offset:17472                          // 000000008B10: D86C4440 5900000A
	ds_read_b32 v90, v10 offset:17536                          // 000000008B18: D86C4480 5A00000A
	ds_read_b32 v91, v10 offset:17600                          // 000000008B20: D86C44C0 5B00000A
	ds_read_b32 v92, v10 offset:17664                          // 000000008B28: D86C4500 5C00000A
	ds_read_b32 v93, v10 offset:17728                          // 000000008B30: D86C4540 5D00000A
	ds_read_b32 v94, v10 offset:17792                          // 000000008B38: D86C4580 5E00000A
	ds_read_b32 v95, v10 offset:17856                          // 000000008B40: D86C45C0 5F00000A
	buffer_load_dwordx4 a[28:31], v28, s[16:19], 0 offen offset:1024// 000000008B48: E05C1400 80841C1C
	v_cvt_f32_i32_e32 v192, v192                               // 000000008B50: 7F800BC0
	v_cvt_f32_i32_e32 v193, v193                               // 000000008B54: 7F820BC1
	v_cvt_f32_i32_e32 v194, v194                               // 000000008B58: 7F840BC2
	v_cvt_f32_i32_e32 v195, v195                               // 000000008B5C: 7F860BC3
	v_cvt_f32_i32_e32 v196, v196                               // 000000008B60: 7F880BC4
	v_cvt_f32_i32_e32 v197, v197                               // 000000008B64: 7F8A0BC5
	v_cvt_f32_i32_e32 v198, v198                               // 000000008B68: 7F8C0BC6
	v_cvt_f32_i32_e32 v199, v199                               // 000000008B6C: 7F8E0BC7
	v_mul_f32_e32 v192, v58, v192                              // 000000008B70: 0B81813A
	v_mul_f32_e32 v193, v58, v193                              // 000000008B74: 0B83833A
	v_mul_f32_e32 v194, v58, v194                              // 000000008B78: 0B85853A
	v_mul_f32_e32 v195, v58, v195                              // 000000008B7C: 0B87873A
	v_mul_f32_e32 v196, v58, v196                              // 000000008B80: 0B89893A
	v_mul_f32_e32 v197, v58, v197                              // 000000008B84: 0B8B8B3A
	v_mul_f32_e32 v198, v58, v198                              // 000000008B88: 0B8D8D3A
	v_mul_f32_e32 v199, v58, v199                              // 000000008B8C: 0B8F8F3A
	s_waitcnt lgkmcnt(0)                                       // 000000008B90: BF8CC07F
	v_max3_f32 v62, v80, v81, v62                              // 000000008B94: D1D3003E 04FAA350
	v_max3_f32 v62, v82, v83, v62                              // 000000008B9C: D1D3003E 04FAA752
	v_max3_f32 v62, v84, v85, v62                              // 000000008BA4: D1D3003E 04FAAB54
	v_max3_f32 v62, v86, v87, v62                              // 000000008BAC: D1D3003E 04FAAF56
	v_max3_f32 v62, v88, v89, v62                              // 000000008BB4: D1D3003E 04FAB358
	v_max3_f32 v62, v90, v91, v62                              // 000000008BBC: D1D3003E 04FAB75A
	v_max3_f32 v62, v92, v93, v62                              // 000000008BC4: D1D3003E 04FABB5C
	v_max3_f32 v62, v94, v95, v62                              // 000000008BCC: D1D3003E 04FABF5E
	buffer_load_dwordx4 a[64:67], v33, s[20:23], 0 offen       // 000000008BD4: E05C1000 80854021
	v_mov_b32_e32 v41, 0xff800000                              // 000000008BDC: 7E5202FF FF800000
	v_cmp_eq_u32_e64 s[40:41], v41, v14                        // 000000008BE4: D0CA0028 00021D29
	s_nop 1                                                    // 000000008BEC: BF800001
	v_max_f32_e32 v18, v62, v14                                // 000000008BF0: 16241D3E
	v_mul_f32_e32 v67, s64, v18                                // 000000008BF4: 0A862440
	v_fma_f32 v128, v128, s64, -v67                            // 000000008BF8: D1CB0080 850C8180
	v_fma_f32 v129, v129, s64, -v67                            // 000000008C00: D1CB0081 850C8181
	v_fma_f32 v130, v130, s64, -v67                            // 000000008C08: D1CB0082 850C8182
	v_fma_f32 v131, v131, s64, -v67                            // 000000008C10: D1CB0083 850C8183
	v_fma_f32 v132, v132, s64, -v67                            // 000000008C18: D1CB0084 850C8184
	v_fma_f32 v133, v133, s64, -v67                            // 000000008C20: D1CB0085 850C8185
	v_fma_f32 v134, v134, s64, -v67                            // 000000008C28: D1CB0086 850C8186
	v_fma_f32 v135, v135, s64, -v67                            // 000000008C30: D1CB0087 850C8187
	v_fma_f32 v136, v136, s64, -v67                            // 000000008C38: D1CB0088 850C8188
	v_fma_f32 v137, v137, s64, -v67                            // 000000008C40: D1CB0089 850C8189
	v_fma_f32 v138, v138, s64, -v67                            // 000000008C48: D1CB008A 850C818A
	v_fma_f32 v139, v139, s64, -v67                            // 000000008C50: D1CB008B 850C818B
	v_fma_f32 v140, v140, s64, -v67                            // 000000008C58: D1CB008C 850C818C
	v_fma_f32 v141, v141, s64, -v67                            // 000000008C60: D1CB008D 850C818D
	v_fma_f32 v142, v142, s64, -v67                            // 000000008C68: D1CB008E 850C818E
	v_fma_f32 v143, v143, s64, -v67                            // 000000008C70: D1CB008F 850C818F
	buffer_load_dwordx4 a[68:71], v34, s[20:23], 0 offen       // 000000008C78: E05C1000 80854422
	v_exp_f32_e32 v128, v128                                   // 000000008C80: 7F004180
	v_exp_f32_e32 v129, v129                                   // 000000008C84: 7F024181
	v_exp_f32_e32 v130, v130                                   // 000000008C88: 7F044182
	v_exp_f32_e32 v131, v131                                   // 000000008C8C: 7F064183
	v_exp_f32_e32 v132, v132                                   // 000000008C90: 7F084184
	v_exp_f32_e32 v133, v133                                   // 000000008C94: 7F0A4185
	v_exp_f32_e32 v134, v134                                   // 000000008C98: 7F0C4186
	v_exp_f32_e32 v135, v135                                   // 000000008C9C: 7F0E4187
	v_exp_f32_e32 v136, v136                                   // 000000008CA0: 7F104188
	v_exp_f32_e32 v137, v137                                   // 000000008CA4: 7F124189
	v_exp_f32_e32 v138, v138                                   // 000000008CA8: 7F14418A
	v_exp_f32_e32 v139, v139                                   // 000000008CAC: 7F16418B
	v_exp_f32_e32 v140, v140                                   // 000000008CB0: 7F18418C
	v_exp_f32_e32 v141, v141                                   // 000000008CB4: 7F1A418D
	v_exp_f32_e32 v142, v142                                   // 000000008CB8: 7F1C418E
	v_exp_f32_e32 v143, v143                                   // 000000008CBC: 7F1E418F
	buffer_load_dwordx4 a[72:75], v35, s[20:23], 0 offen       // 000000008CC0: E05C1000 80854823
	v_mul_f32_dpp v240, v252, v128 quad_perm:[0,0,0,0] row_mask:0xf bank_mask:0xf// 000000008CC8: 0BE100FA FF0000FC
	v_mul_f32_dpp v241, v252, v129 quad_perm:[1,1,1,1] row_mask:0xf bank_mask:0xf// 000000008CD0: 0BE302FA FF0055FC
	v_mul_f32_dpp v242, v252, v130 quad_perm:[2,2,2,2] row_mask:0xf bank_mask:0xf// 000000008CD8: 0BE504FA FF00AAFC
	v_mul_f32_dpp v243, v252, v131 quad_perm:[3,3,3,3] row_mask:0xf bank_mask:0xf// 000000008CE0: 0BE706FA FF00FFFC
	v_mul_f32_dpp v244, v253, v132 quad_perm:[0,0,0,0] row_mask:0xf bank_mask:0xf// 000000008CE8: 0BE908FA FF0000FD
	v_mul_f32_dpp v245, v253, v133 quad_perm:[1,1,1,1] row_mask:0xf bank_mask:0xf// 000000008CF0: 0BEB0AFA FF0055FD
	v_mul_f32_dpp v246, v253, v134 quad_perm:[2,2,2,2] row_mask:0xf bank_mask:0xf// 000000008CF8: 0BED0CFA FF00AAFD
	v_mul_f32_dpp v247, v253, v135 quad_perm:[3,3,3,3] row_mask:0xf bank_mask:0xf// 000000008D00: 0BEF0EFA FF00FFFD
	v_mul_f32_dpp v248, v254, v136 quad_perm:[0,0,0,0] row_mask:0xf bank_mask:0xf// 000000008D08: 0BF110FA FF0000FE
	v_mul_f32_dpp v249, v254, v137 quad_perm:[1,1,1,1] row_mask:0xf bank_mask:0xf// 000000008D10: 0BF312FA FF0055FE
	v_mul_f32_dpp v250, v254, v138 quad_perm:[2,2,2,2] row_mask:0xf bank_mask:0xf// 000000008D18: 0BF514FA FF00AAFE
	v_mul_f32_dpp v251, v254, v139 quad_perm:[3,3,3,3] row_mask:0xf bank_mask:0xf// 000000008D20: 0BF716FA FF00FFFE
	v_mul_f32_dpp v252, v255, v140 quad_perm:[0,0,0,0] row_mask:0xf bank_mask:0xf// 000000008D28: 0BF918FA FF0000FF
	v_mul_f32_dpp v253, v255, v141 quad_perm:[1,1,1,1] row_mask:0xf bank_mask:0xf// 000000008D30: 0BFB1AFA FF0055FF
	v_mul_f32_dpp v254, v255, v142 quad_perm:[2,2,2,2] row_mask:0xf bank_mask:0xf// 000000008D38: 0BFD1CFA FF00AAFF
	v_mul_f32_dpp v255, v255, v143 quad_perm:[3,3,3,3] row_mask:0xf bank_mask:0xf// 000000008D40: 0BFF1EFA FF00FFFF
	v_mov_b32_e32 v62, 0x358637bd                              // 000000008D48: 7E7C02FF 358637BD
	v_max3_f32 v62, |v240|, |v241|, v62                        // 000000008D50: D1D3033E 04FBE3F0
	v_max3_f32 v62, |v242|, |v243|, v62                        // 000000008D58: D1D3033E 04FBE7F2
	v_max3_f32 v62, |v244|, |v245|, v62                        // 000000008D60: D1D3033E 04FBEBF4
	v_max3_f32 v62, |v246|, |v247|, v62                        // 000000008D68: D1D3033E 04FBEFF6
	v_max3_f32 v62, |v248|, |v249|, v62                        // 000000008D70: D1D3033E 04FBF3F8
	v_max3_f32 v62, |v250|, |v251|, v62                        // 000000008D78: D1D3033E 04FBF7FA
	v_max3_f32 v62, |v252|, |v253|, v62                        // 000000008D80: D1D3033E 04FBFBFC
	v_max3_f32 v62, |v254|, |v255|, v62                        // 000000008D88: D1D3033E 04FBFFFE
	buffer_load_dwordx4 a[76:79], v36, s[20:23], 0 offen       // 000000008D90: E05C1000 80854C24
	ds_write_b32 v11, v62 offset:20992                         // 000000008D98: D81A5200 00003E0B
	v_sub_f32_e32 v63, v14, v18                                // 000000008DA0: 047E250E
	v_cndmask_b32_e64 v63, v63, 0, s[40:41]                    // 000000008DA4: D100003F 00A1013F
	v_mov_b32_e32 v14, v18                                     // 000000008DAC: 7E1C0312
	v_mul_f32_e32 v63, s64, v63                                // 000000008DB0: 0A7E7E40
	v_exp_f32_e32 v63, v63                                     // 000000008DB4: 7E7E413F
	s_waitcnt lgkmcnt(0)                                       // 000000008DB8: BF8CC07F
	s_barrier                                                  // 000000008DBC: BF8A0000
	ds_read_b32 v80, v10 offset:20992                          // 000000008DC0: D86C5200 5000000A
	ds_read_b32 v81, v10 offset:21056                          // 000000008DC8: D86C5240 5100000A
	ds_read_b32 v82, v10 offset:21120                          // 000000008DD0: D86C5280 5200000A
	ds_read_b32 v83, v10 offset:21184                          // 000000008DD8: D86C52C0 5300000A
	ds_read_b32 v84, v10 offset:21248                          // 000000008DE0: D86C5300 5400000A
	ds_read_b32 v85, v10 offset:21312                          // 000000008DE8: D86C5340 5500000A
	ds_read_b32 v86, v10 offset:21376                          // 000000008DF0: D86C5380 5600000A
	ds_read_b32 v87, v10 offset:21440                          // 000000008DF8: D86C53C0 5700000A
	ds_read_b32 v88, v10 offset:21504                          // 000000008E00: D86C5400 5800000A
	ds_read_b32 v89, v10 offset:21568                          // 000000008E08: D86C5440 5900000A
	ds_read_b32 v90, v10 offset:21632                          // 000000008E10: D86C5480 5A00000A
	ds_read_b32 v91, v10 offset:21696                          // 000000008E18: D86C54C0 5B00000A
	ds_read_b32 v92, v10 offset:21760                          // 000000008E20: D86C5500 5C00000A
	ds_read_b32 v93, v10 offset:21824                          // 000000008E28: D86C5540 5D00000A
	ds_read_b32 v94, v10 offset:21888                          // 000000008E30: D86C5580 5E00000A
	ds_read_b32 v95, v10 offset:21952                          // 000000008E38: D86C55C0 5F00000A
	v_mul_f32_e32 v47, v63, v47                                // 000000008E40: 0A5E5F3F
	v_mov_b32_e32 v18, v128                                    // 000000008E44: 7E240380
	v_add_f32_e32 v18, v129, v18                               // 000000008E48: 02242581
	v_add_f32_e32 v18, v130, v18                               // 000000008E4C: 02242582
	v_add_f32_e32 v18, v131, v18                               // 000000008E50: 02242583
	v_add_f32_e32 v18, v132, v18                               // 000000008E54: 02242584
	v_add_f32_e32 v18, v133, v18                               // 000000008E58: 02242585
	v_add_f32_e32 v18, v134, v18                               // 000000008E5C: 02242586
	v_add_f32_e32 v18, v135, v18                               // 000000008E60: 02242587
	v_add_f32_e32 v18, v136, v18                               // 000000008E64: 02242588
	v_add_f32_e32 v18, v137, v18                               // 000000008E68: 02242589
	v_add_f32_e32 v18, v138, v18                               // 000000008E6C: 0224258A
	v_add_f32_e32 v18, v139, v18                               // 000000008E70: 0224258B
	v_add_f32_e32 v18, v140, v18                               // 000000008E74: 0224258C
	v_add_f32_e32 v18, v141, v18                               // 000000008E78: 0224258D
	v_add_f32_e32 v18, v142, v18                               // 000000008E7C: 0224258E
	v_add_f32_e32 v18, v143, v18                               // 000000008E80: 0224258F
	v_add_f32_e32 v47, v18, v47                                // 000000008E84: 025E5F12
	s_waitcnt lgkmcnt(0)                                       // 000000008E88: BF8CC07F
	v_max3_f32 v62, |v80|, |v81|, v62                          // 000000008E8C: D1D3033E 04FAA350
	v_max3_f32 v62, |v82|, |v83|, v62                          // 000000008E94: D1D3033E 04FAA752
	v_max3_f32 v62, |v84|, |v85|, v62                          // 000000008E9C: D1D3033E 04FAAB54
	v_max3_f32 v62, |v86|, |v87|, v62                          // 000000008EA4: D1D3033E 04FAAF56
	v_max3_f32 v62, |v88|, |v89|, v62                          // 000000008EAC: D1D3033E 04FAB358
	v_max3_f32 v62, |v90|, |v91|, v62                          // 000000008EB4: D1D3033E 04FAB75A
	v_max3_f32 v62, |v92|, |v93|, v62                          // 000000008EBC: D1D3033E 04FABB5C
	v_max3_f32 v62, |v94|, |v95|, v62                          // 000000008EC4: D1D3033E 04FABF5E
	s_nop 2                                                    // 000000008ECC: BF800002
	v_rcp_f32_e32 v62, v62                                     // 000000008ED0: 7E7C453E
	s_nop 1                                                    // 000000008ED4: BF800001
	v_mul_f32_e32 v62, 0x42fe0000, v62                         // 000000008ED8: 0A7C7CFF 42FE0000
	v_mul_f32_e32 v128, v62, v240                              // 000000008EE0: 0B01E13E
	v_mul_f32_e32 v129, v62, v241                              // 000000008EE4: 0B03E33E
	v_mul_f32_e32 v130, v62, v242                              // 000000008EE8: 0B05E53E
	v_mul_f32_e32 v131, v62, v243                              // 000000008EEC: 0B07E73E
	v_mul_f32_e32 v132, v62, v244                              // 000000008EF0: 0B09E93E
	v_mul_f32_e32 v133, v62, v245                              // 000000008EF4: 0B0BEB3E
	v_mul_f32_e32 v134, v62, v246                              // 000000008EF8: 0B0DED3E
	v_mul_f32_e32 v135, v62, v247                              // 000000008EFC: 0B0FEF3E
	v_mul_f32_e32 v136, v62, v248                              // 000000008F00: 0B11F13E
	v_mul_f32_e32 v137, v62, v249                              // 000000008F04: 0B13F33E
	v_mul_f32_e32 v138, v62, v250                              // 000000008F08: 0B15F53E
	v_mul_f32_e32 v139, v62, v251                              // 000000008F0C: 0B17F73E
	v_mul_f32_e32 v140, v62, v252                              // 000000008F10: 0B19F93E
	v_mul_f32_e32 v141, v62, v253                              // 000000008F14: 0B1BFB3E
	v_mul_f32_e32 v142, v62, v254                              // 000000008F18: 0B1DFD3E
	v_mul_f32_e32 v143, v62, v255                              // 000000008F1C: 0B1FFF3E
	v_cvt_i32_f32_e32 v128, v128                               // 000000008F20: 7F001180
	v_cvt_i32_f32_e32 v129, v129                               // 000000008F24: 7F021181
	v_cvt_i32_f32_e32 v130, v130                               // 000000008F28: 7F041182
	v_cvt_i32_f32_e32 v131, v131                               // 000000008F2C: 7F061183
	v_cvt_i32_f32_e32 v132, v132                               // 000000008F30: 7F081184
	v_cvt_i32_f32_e32 v133, v133                               // 000000008F34: 7F0A1185
	v_cvt_i32_f32_e32 v134, v134                               // 000000008F38: 7F0C1186
	v_cvt_i32_f32_e32 v135, v135                               // 000000008F3C: 7F0E1187
	v_cvt_i32_f32_e32 v136, v136                               // 000000008F40: 7F101188
	v_cvt_i32_f32_e32 v137, v137                               // 000000008F44: 7F121189
	v_cvt_i32_f32_e32 v138, v138                               // 000000008F48: 7F14118A
	v_cvt_i32_f32_e32 v139, v139                               // 000000008F4C: 7F16118B
	v_cvt_i32_f32_e32 v140, v140                               // 000000008F50: 7F18118C
	v_cvt_i32_f32_e32 v141, v141                               // 000000008F54: 7F1A118D
	v_cvt_i32_f32_e32 v142, v142                               // 000000008F58: 7F1C118E
	v_cvt_i32_f32_e32 v143, v143                               // 000000008F5C: 7F1E118F
	v_perm_b32 v128, v129, v128, s53                           // 000000008F60: D1ED0080 00D70181
	v_perm_b32 v128, v130, v128, s54                           // 000000008F68: D1ED0080 00DB0182
	v_perm_b32 v128, v131, v128, s55                           // 000000008F70: D1ED0080 00DF0183
	v_perm_b32 v129, v133, v132, s53                           // 000000008F78: D1ED0081 00D70985
	v_perm_b32 v129, v134, v129, s54                           // 000000008F80: D1ED0081 00DB0386
	v_perm_b32 v129, v135, v129, s55                           // 000000008F88: D1ED0081 00DF0387
	v_perm_b32 v130, v137, v136, s53                           // 000000008F90: D1ED0082 00D71189
	v_perm_b32 v130, v138, v130, s54                           // 000000008F98: D1ED0082 00DB058A
	v_perm_b32 v130, v139, v130, s55                           // 000000008FA0: D1ED0082 00DF058B
	v_perm_b32 v131, v141, v140, s53                           // 000000008FA8: D1ED0083 00D7198D
	v_perm_b32 v131, v142, v131, s54                           // 000000008FB0: D1ED0083 00DB078E
	v_perm_b32 v131, v143, v131, s55                           // 000000008FB8: D1ED0083 00DF078F
	ds_write_b32 v13, v128 offset:25088                        // 000000008FC0: D81A6200 0000800D
	ds_write_b32 v13, v129 offset:26112                        // 000000008FC8: D81A6600 0000810D
	ds_write_b32 v13, v130 offset:27136                        // 000000008FD0: D81A6A00 0000820D
	ds_write_b32 v13, v131 offset:28160                        // 000000008FD8: D81A6E00 0000830D
	v_add_f32_e32 v224, v224, v192                             // 000000008FE0: 03C181E0
	v_add_f32_e32 v225, v225, v193                             // 000000008FE4: 03C383E1
	v_add_f32_e32 v226, v226, v194                             // 000000008FE8: 03C585E2
	v_add_f32_e32 v227, v227, v195                             // 000000008FEC: 03C787E3
	v_add_f32_e32 v228, v228, v196                             // 000000008FF0: 03C989E4
	v_add_f32_e32 v229, v229, v197                             // 000000008FF4: 03CB8BE5
	v_add_f32_e32 v230, v230, v198                             // 000000008FF8: 03CD8DE6
	v_add_f32_e32 v231, v231, v199                             // 000000008FFC: 03CF8FE7
	v_rcp_f32_e32 v58, v62                                     // 000000009000: 7E74453E
	s_waitcnt lgkmcnt(0)                                       // 000000009004: BF8CC07F
	s_barrier                                                  // 000000009008: BF8A0000
	ds_read_b64 v[128:129], v12 offset:25088                   // 00000000900C: D8EC6200 8000000C
	ds_read_b64 v[130:131], v12 offset:25216                   // 000000009014: D8EC6280 8200000C
	ds_read_b64 v[132:133], v12 offset:26112                   // 00000000901C: D8EC6600 8400000C
	ds_read_b64 v[134:135], v12 offset:26240                   // 000000009024: D8EC6680 8600000C
	ds_read_b64 v[136:137], v12 offset:27136                   // 00000000902C: D8EC6A00 8800000C
	ds_read_b64 v[138:139], v12 offset:27264                   // 000000009034: D8EC6A80 8A00000C
	ds_read_b64 v[140:141], v12 offset:28160                   // 00000000903C: D8EC6E00 8C00000C
	ds_read_b64 v[142:143], v12 offset:28288                   // 000000009044: D8EC6E80 8E00000C
	s_waitcnt vmcnt(15)                                        // 00000000904C: BF8C0F7F
	s_waitcnt lgkmcnt(7)                                       // 000000009050: BF8CC77F
	v_mfma_i32_16x16x32_i8 v[192:195], a[96:97], v[128:129], 0 // 000000009054: D3D700C0 0A030160
	buffer_load_dwordx4 a[80:83], v33, s[20:23], 0 offen offset:1024// 00000000905C: E05C1400 80855021
	s_waitcnt lgkmcnt(6)                                       // 000000009064: BF8CC67F
	v_mfma_i32_16x16x32_i8 v[192:195], a[98:99], v[130:131], v[192:195]// 000000009068: D3D700C0 0F030562
	s_waitcnt lgkmcnt(5)                                       // 000000009070: BF8CC57F
	v_mfma_i32_16x16x32_i8 v[192:195], a[100:101], v[132:133], v[192:195]// 000000009074: D3D700C0 0F030964
	s_waitcnt lgkmcnt(4)                                       // 00000000907C: BF8CC47F
	v_mfma_i32_16x16x32_i8 v[192:195], a[102:103], v[134:135], v[192:195]// 000000009080: D3D700C0 0F030D66
	s_waitcnt lgkmcnt(3)                                       // 000000009088: BF8CC37F
	v_mfma_i32_16x16x32_i8 v[192:195], a[104:105], v[136:137], v[192:195]// 00000000908C: D3D700C0 0F031168
	buffer_load_dwordx4 a[84:87], v34, s[20:23], 0 offen offset:1024// 000000009094: E05C1400 80855422
	s_waitcnt lgkmcnt(2)                                       // 00000000909C: BF8CC27F
	v_mfma_i32_16x16x32_i8 v[192:195], a[106:107], v[138:139], v[192:195]// 0000000090A0: D3D700C0 0F03156A
	s_waitcnt lgkmcnt(1)                                       // 0000000090A8: BF8CC17F
	v_mfma_i32_16x16x32_i8 v[192:195], a[108:109], v[140:141], v[192:195]// 0000000090AC: D3D700C0 0F03196C
	s_waitcnt lgkmcnt(0)                                       // 0000000090B4: BF8CC07F
	v_mfma_i32_16x16x32_i8 v[192:195], a[110:111], v[142:143], v[192:195]// 0000000090B8: D3D700C0 0F031D6E
	v_mfma_i32_16x16x32_i8 v[196:199], a[112:113], v[128:129], 0// 0000000090C0: D3D700C4 0A030170
	buffer_load_dwordx4 a[88:91], v35, s[20:23], 0 offen offset:1024// 0000000090C8: E05C1400 80855823
	v_mfma_i32_16x16x32_i8 v[196:199], a[114:115], v[130:131], v[196:199]// 0000000090D0: D3D700C4 0F130572
	v_mfma_i32_16x16x32_i8 v[196:199], a[116:117], v[132:133], v[196:199]// 0000000090D8: D3D700C4 0F130974
	v_mfma_i32_16x16x32_i8 v[196:199], a[118:119], v[134:135], v[196:199]// 0000000090E0: D3D700C4 0F130D76
	v_mfma_i32_16x16x32_i8 v[196:199], a[120:121], v[136:137], v[196:199]// 0000000090E8: D3D700C4 0F131178
	buffer_load_dwordx4 a[92:95], v36, s[20:23], 0 offen offset:1024// 0000000090F0: E05C1400 80855C24
	v_mfma_i32_16x16x32_i8 v[196:199], a[122:123], v[138:139], v[196:199]// 0000000090F8: D3D700C4 0F13157A
	v_mfma_i32_16x16x32_i8 v[196:199], a[124:125], v[140:141], v[196:199]// 000000009100: D3D700C4 0F13197C
	s_lshr_b32 s57, s70, 4                                     // 000000009108: 8F398446
	s_add_u32 s57, 48, s57                                     // 00000000910C: 803939B0
	v_mfma_i32_16x16x32_i8 v[196:199], a[126:127], v[142:143], v[196:199]// 000000009110: D3D700C4 0F131D7E
	s_cmp_ge_u32 s57, s73                                      // 000000009118: BF094939
	s_cselect_b32 s56, 0, s56                                  // 00000000911C: 85383880
	v_add_u32_e32 v1, s56, v1                                  // 000000009120: 68020238
	s_addk_i32 s70, 0x100                                      // 000000009124: B7460100
	s_cmp_lt_i32 s70, s71                                      // 000000009128: BF044746
	s_cbranch_scc0 label_15E1                                  // 00000000912C: BF84FA15
	s_branch label_15E4                                        // 000000009130: BF82FA17

0000000000009134 <label_1BCD>:
	s_lshr_b32 s60, s71, 4                                     // 000000009134: 8F3C8447
	s_cmp_eq_i32 s60, s73                                      // 000000009138: BF00493C
	s_cbranch_scc1 label_221C                                  // 00000000913C: BF85064C
	s_lshr_b32 s60, s71, 8                                     // 000000009140: 8F3C8847
	s_and_b32 s60, s60, 1                                      // 000000009144: 863C813C
	s_cmp_eq_i32 s60, 1                                        // 000000009148: BF00813C
	s_cbranch_scc1 label_1EF8                                  // 00000000914C: BF850324
	s_waitcnt vmcnt(8) lgkmcnt(0)                              // 000000009150: BF8C0078
	s_barrier                                                  // 000000009154: BF8A0000
	v_mfma_i32_16x16x32_i8 v[128:131], a[0:1], v[96:97], 0     // 000000009158: D3D70080 0A02C100
	v_mfma_i32_16x16x32_i8 v[128:131], a[2:3], v[98:99], v[128:131]// 000000009160: D3D70080 0E02C502
	v_mfma_i32_16x16x32_i8 v[128:131], a[4:5], v[100:101], v[128:131]// 000000009168: D3D70080 0E02C904
	v_mfma_i32_16x16x32_i8 v[128:131], a[6:7], v[102:103], v[128:131]// 000000009170: D3D70080 0E02CD06
	v_mfma_i32_16x16x32_i8 v[132:135], a[8:9], v[96:97], 0     // 000000009178: D3D70084 0A02C108
	v_mfma_i32_16x16x32_i8 v[132:135], a[10:11], v[98:99], v[132:135]// 000000009180: D3D70084 0E12C50A
	v_mfma_i32_16x16x32_i8 v[132:135], a[12:13], v[100:101], v[132:135]// 000000009188: D3D70084 0E12C90C
	v_mfma_i32_16x16x32_i8 v[132:135], a[14:15], v[102:103], v[132:135]// 000000009190: D3D70084 0E12CD0E
	v_mfma_i32_16x16x32_i8 v[136:139], a[16:17], v[96:97], 0   // 000000009198: D3D70088 0A02C110
	v_mfma_i32_16x16x32_i8 v[136:139], a[18:19], v[98:99], v[136:139]// 0000000091A0: D3D70088 0E22C512
	v_mfma_i32_16x16x32_i8 v[136:139], a[20:21], v[100:101], v[136:139]// 0000000091A8: D3D70088 0E22C914
	v_mfma_i32_16x16x32_i8 v[136:139], a[22:23], v[102:103], v[136:139]// 0000000091B0: D3D70088 0E22CD16
	v_mfma_i32_16x16x32_i8 v[140:143], a[24:25], v[96:97], 0   // 0000000091B8: D3D7008C 0A02C118
	v_mfma_i32_16x16x32_i8 v[140:143], a[26:27], v[98:99], v[140:143]// 0000000091C0: D3D7008C 0E32C51A
	v_mfma_i32_16x16x32_i8 v[140:143], a[28:29], v[100:101], v[140:143]// 0000000091C8: D3D7008C 0E32C91C
	v_mfma_i32_16x16x32_i8 v[140:143], a[30:31], v[102:103], v[140:143]// 0000000091D0: D3D7008C 0E32CD1E
	v_mov_b32_dpp v41, v52 row_shr:4 row_mask:0xf bank_mask:0xf// 0000000091D8: 7E5202FA FF011434
	v_mov_b32_dpp v42, v52 row_shl:4 row_mask:0xf bank_mask:0xf// 0000000091E0: 7E5402FA FF010434
	v_cndmask_b32_e64 v248, v52, v41, s[44:45]                 // 0000000091E8: D10000F8 00B25334
	v_cndmask_b32_e64 v249, v42, v52, s[44:45]                 // 0000000091F0: D10000F9 00B2692A
	v_mov_b32_dpp v41, v248 row_shr:8 row_mask:0xf bank_mask:0xf// 0000000091F8: 7E5202FA FF0118F8
	v_mov_b32_dpp v42, v248 row_shl:8 row_mask:0xf bank_mask:0xf// 000000009200: 7E5402FA FF0108F8
	v_mov_b32_dpp v43, v249 row_shr:8 row_mask:0xf bank_mask:0xf// 000000009208: 7E5602FA FF0118F9
	v_mov_b32_dpp v44, v249 row_shl:8 row_mask:0xf bank_mask:0xf// 000000009210: 7E5802FA FF0108F9
	v_mov_b32_e32 v45, v248                                    // 000000009218: 7E5A03F8
	v_mov_b32_e32 v46, v249                                    // 00000000921C: 7E5C03F9
	v_cndmask_b32_e64 v248, v45, v41, s[42:43]                 // 000000009220: D10000F8 00AA532D
	v_cndmask_b32_e64 v250, v45, v42, s[78:79]                 // 000000009228: D10000FA 013A552D
	v_cndmask_b32_e64 v249, v46, v43, s[42:43]                 // 000000009230: D10000F9 00AA572E
	v_cndmask_b32_e64 v251, v46, v44, s[78:79]                 // 000000009238: D10000FB 013A592E
	v_mov_b32_dpp v41, v72 row_shr:4 row_mask:0xf bank_mask:0xf// 000000009240: 7E5202FA FF011448
	v_mov_b32_dpp v42, v72 row_shl:4 row_mask:0xf bank_mask:0xf// 000000009248: 7E5402FA FF010448
	v_cndmask_b32_e64 v252, v72, v41, s[44:45]                 // 000000009250: D10000FC 00B25348
	v_cndmask_b32_e64 v253, v42, v72, s[44:45]                 // 000000009258: D10000FD 00B2912A
	v_mov_b32_dpp v41, v252 row_shr:8 row_mask:0xf bank_mask:0xf// 000000009260: 7E5202FA FF0118FC
	v_mov_b32_dpp v42, v252 row_shl:8 row_mask:0xf bank_mask:0xf// 000000009268: 7E5402FA FF0108FC
	v_mov_b32_dpp v43, v253 row_shr:8 row_mask:0xf bank_mask:0xf// 000000009270: 7E5602FA FF0118FD
	v_mov_b32_dpp v44, v253 row_shl:8 row_mask:0xf bank_mask:0xf// 000000009278: 7E5802FA FF0108FD
	v_mov_b32_e32 v45, v252                                    // 000000009280: 7E5A03FC
	v_mov_b32_e32 v46, v253                                    // 000000009284: 7E5C03FD
	v_cndmask_b32_e64 v252, v45, v41, s[42:43]                 // 000000009288: D10000FC 00AA532D
	v_cndmask_b32_e64 v254, v45, v42, s[78:79]                 // 000000009290: D10000FE 013A552D
	v_cndmask_b32_e64 v253, v46, v43, s[42:43]                 // 000000009298: D10000FD 00AA572E
	v_cndmask_b32_e64 v255, v46, v44, s[78:79]                 // 0000000092A0: D10000FF 013A592E
	v_cvt_f32_i32_e32 v128, v128                               // 0000000092A8: 7F000B80
	v_cvt_f32_i32_e32 v129, v129                               // 0000000092AC: 7F020B81
	v_cvt_f32_i32_e32 v130, v130                               // 0000000092B0: 7F040B82
	v_cvt_f32_i32_e32 v131, v131                               // 0000000092B4: 7F060B83
	v_cvt_f32_i32_e32 v132, v132                               // 0000000092B8: 7F080B84
	v_cvt_f32_i32_e32 v133, v133                               // 0000000092BC: 7F0A0B85
	v_cvt_f32_i32_e32 v134, v134                               // 0000000092C0: 7F0C0B86
	v_cvt_f32_i32_e32 v135, v135                               // 0000000092C4: 7F0E0B87
	v_cvt_f32_i32_e32 v136, v136                               // 0000000092C8: 7F100B88
	v_cvt_f32_i32_e32 v137, v137                               // 0000000092CC: 7F120B89
	v_cvt_f32_i32_e32 v138, v138                               // 0000000092D0: 7F140B8A
	v_cvt_f32_i32_e32 v139, v139                               // 0000000092D4: 7F160B8B
	v_cvt_f32_i32_e32 v140, v140                               // 0000000092D8: 7F180B8C
	v_cvt_f32_i32_e32 v141, v141                               // 0000000092DC: 7F1A0B8D
	v_cvt_f32_i32_e32 v142, v142                               // 0000000092E0: 7F1C0B8E
	v_cvt_f32_i32_e32 v143, v143                               // 0000000092E4: 7F1E0B8F
	v_mul_f32_e32 v128, v54, v128                              // 0000000092E8: 0B010136
	v_mul_f32_e32 v129, v54, v129                              // 0000000092EC: 0B030336
	v_mul_f32_e32 v130, v54, v130                              // 0000000092F0: 0B050536
	v_mul_f32_e32 v131, v54, v131                              // 0000000092F4: 0B070736
	v_mul_f32_e32 v132, v54, v132                              // 0000000092F8: 0B090936
	v_mul_f32_e32 v133, v54, v133                              // 0000000092FC: 0B0B0B36
	v_mul_f32_e32 v134, v54, v134                              // 000000009300: 0B0D0D36
	v_mul_f32_e32 v135, v54, v135                              // 000000009304: 0B0F0F36
	v_mul_f32_e32 v136, v54, v136                              // 000000009308: 0B111136
	v_mul_f32_e32 v137, v54, v137                              // 00000000930C: 0B131336
	v_mul_f32_e32 v138, v54, v138                              // 000000009310: 0B151536
	v_mul_f32_e32 v139, v54, v139                              // 000000009314: 0B171736
	v_mul_f32_e32 v140, v54, v140                              // 000000009318: 0B191936
	v_mul_f32_e32 v141, v54, v141                              // 00000000931C: 0B1B1B36
	v_mul_f32_e32 v142, v54, v142                              // 000000009320: 0B1D1D36
	v_mul_f32_e32 v143, v54, v143                              // 000000009324: 0B1F1F36
	v_mul_f32_dpp v128, v248, v128 quad_perm:[0,0,0,0] row_mask:0xf bank_mask:0xf// 000000009328: 0B0100FA FF0000F8
	v_mul_f32_dpp v129, v248, v129 quad_perm:[1,1,1,1] row_mask:0xf bank_mask:0xf// 000000009330: 0B0302FA FF0055F8
	v_mul_f32_dpp v130, v248, v130 quad_perm:[2,2,2,2] row_mask:0xf bank_mask:0xf// 000000009338: 0B0504FA FF00AAF8
	v_mul_f32_dpp v131, v248, v131 quad_perm:[3,3,3,3] row_mask:0xf bank_mask:0xf// 000000009340: 0B0706FA FF00FFF8
	v_mul_f32_dpp v132, v249, v132 quad_perm:[0,0,0,0] row_mask:0xf bank_mask:0xf// 000000009348: 0B0908FA FF0000F9
	v_mul_f32_dpp v133, v249, v133 quad_perm:[1,1,1,1] row_mask:0xf bank_mask:0xf// 000000009350: 0B0B0AFA FF0055F9
	v_mul_f32_dpp v134, v249, v134 quad_perm:[2,2,2,2] row_mask:0xf bank_mask:0xf// 000000009358: 0B0D0CFA FF00AAF9
	v_mul_f32_dpp v135, v249, v135 quad_perm:[3,3,3,3] row_mask:0xf bank_mask:0xf// 000000009360: 0B0F0EFA FF00FFF9
	v_mul_f32_dpp v136, v250, v136 quad_perm:[0,0,0,0] row_mask:0xf bank_mask:0xf// 000000009368: 0B1110FA FF0000FA
	v_mul_f32_dpp v137, v250, v137 quad_perm:[1,1,1,1] row_mask:0xf bank_mask:0xf// 000000009370: 0B1312FA FF0055FA
	v_mul_f32_dpp v138, v250, v138 quad_perm:[2,2,2,2] row_mask:0xf bank_mask:0xf// 000000009378: 0B1514FA FF00AAFA
	v_mul_f32_dpp v139, v250, v139 quad_perm:[3,3,3,3] row_mask:0xf bank_mask:0xf// 000000009380: 0B1716FA FF00FFFA
	v_mul_f32_dpp v140, v251, v140 quad_perm:[0,0,0,0] row_mask:0xf bank_mask:0xf// 000000009388: 0B1918FA FF0000FB
	v_mul_f32_dpp v141, v251, v141 quad_perm:[1,1,1,1] row_mask:0xf bank_mask:0xf// 000000009390: 0B1B1AFA FF0055FB
	v_mul_f32_dpp v142, v251, v142 quad_perm:[2,2,2,2] row_mask:0xf bank_mask:0xf// 000000009398: 0B1D1CFA FF00AAFB
	v_mul_f32_dpp v143, v251, v143 quad_perm:[3,3,3,3] row_mask:0xf bank_mask:0xf// 0000000093A0: 0B1F1EFA FF00FFFB
	s_cmp_le_i32 s90, s89                                      // 0000000093A8: BF05595A
	s_cbranch_scc1 label_1CDF                                  // 0000000093AC: BF850073
	v_mov_b32_e32 v69, 0xff800000                              // 0000000093B0: 7E8A02FF FF800000
	s_mov_b32 s60, s90                                         // 0000000093B8: BEBC005A
	s_add_u32 s61, s89, 0xff                                   // 0000000093BC: 803DFF59 000000FF
	v_mov_b32_e32 v41, s61                                     // 0000000093C4: 7E52023D
	v_lshrrev_b32_e32 v240, 4, v0                              // 0000000093C8: 21E00084
	v_mul_i32_i24_e32 v240, 4, v240                            // 0000000093CC: 0DE1E084
	v_add_u32_e32 v240, s60, v240                              // 0000000093D0: 69E1E03C
	v_and_b32_e32 v42, 15, v0                                  // 0000000093D4: 2654008F
	v_lshrrev_b32_e32 v42, 3, v42                              // 0000000093D8: 20545483
	s_mov_b32 s61, 0                                           // 0000000093DC: BEBD0080
	s_mul_i32 s60, 16, s7                                      // 0000000093E0: 923C0790
	v_add_u32_e32 v42, s61, v42                                // 0000000093E4: 6854543D
	v_sub_u32_e32 v240, v240, v42                              // 0000000093E8: 6BE055F0
	v_add_u32_e32 v240, s60, v240                              // 0000000093EC: 69E1E03C
	v_add_u32_e32 v241, 1, v240                                // 0000000093F0: 69E3E081
	v_add_u32_e32 v242, 2, v240                                // 0000000093F4: 69E5E082
	v_add_u32_e32 v243, 3, v240                                // 0000000093F8: 69E7E083
	v_cmp_le_u32_e64 s[40:41], v240, v41                       // 0000000093FC: D0CB0028 000253F0
	v_add_u32_e32 v240, 64, v240                               // 000000009404: 69E1E0C0
	s_nop 0                                                    // 000000009408: BF800000
	v_cndmask_b32_e64 v128, v69, v128, s[40:41]                // 00000000940C: D1000080 00A30145
	v_cmp_le_u32_e64 s[40:41], v241, v41                       // 000000009414: D0CB0028 000253F1
	v_add_u32_e32 v241, 64, v241                               // 00000000941C: 69E3E2C0
	s_nop 0                                                    // 000000009420: BF800000
	v_cndmask_b32_e64 v129, v69, v129, s[40:41]                // 000000009424: D1000081 00A30345
	v_cmp_le_u32_e64 s[40:41], v242, v41                       // 00000000942C: D0CB0028 000253F2
	v_add_u32_e32 v242, 64, v242                               // 000000009434: 69E5E4C0
	s_nop 0                                                    // 000000009438: BF800000
	v_cndmask_b32_e64 v130, v69, v130, s[40:41]                // 00000000943C: D1000082 00A30545
	v_cmp_le_u32_e64 s[40:41], v243, v41                       // 000000009444: D0CB0028 000253F3
	v_add_u32_e32 v243, 64, v243                               // 00000000944C: 69E7E6C0
	s_nop 0                                                    // 000000009450: BF800000
	v_cndmask_b32_e64 v131, v69, v131, s[40:41]                // 000000009454: D1000083 00A30745
	v_cmp_le_u32_e64 s[40:41], v240, v41                       // 00000000945C: D0CB0028 000253F0
	v_add_u32_e32 v240, 64, v240                               // 000000009464: 69E1E0C0
	s_nop 0                                                    // 000000009468: BF800000
	v_cndmask_b32_e64 v132, v69, v132, s[40:41]                // 00000000946C: D1000084 00A30945
	v_cmp_le_u32_e64 s[40:41], v241, v41                       // 000000009474: D0CB0028 000253F1
	v_add_u32_e32 v241, 64, v241                               // 00000000947C: 69E3E2C0
	s_nop 0                                                    // 000000009480: BF800000
	v_cndmask_b32_e64 v133, v69, v133, s[40:41]                // 000000009484: D1000085 00A30B45
	v_cmp_le_u32_e64 s[40:41], v242, v41                       // 00000000948C: D0CB0028 000253F2
	v_add_u32_e32 v242, 64, v242                               // 000000009494: 69E5E4C0
	s_nop 0                                                    // 000000009498: BF800000
	v_cndmask_b32_e64 v134, v69, v134, s[40:41]                // 00000000949C: D1000086 00A30D45
	v_cmp_le_u32_e64 s[40:41], v243, v41                       // 0000000094A4: D0CB0028 000253F3
	v_add_u32_e32 v243, 64, v243                               // 0000000094AC: 69E7E6C0
	s_nop 0                                                    // 0000000094B0: BF800000
	v_cndmask_b32_e64 v135, v69, v135, s[40:41]                // 0000000094B4: D1000087 00A30F45
	v_cmp_le_u32_e64 s[40:41], v240, v41                       // 0000000094BC: D0CB0028 000253F0
	v_add_u32_e32 v240, 64, v240                               // 0000000094C4: 69E1E0C0
	s_nop 0                                                    // 0000000094C8: BF800000
	v_cndmask_b32_e64 v136, v69, v136, s[40:41]                // 0000000094CC: D1000088 00A31145
	v_cmp_le_u32_e64 s[40:41], v241, v41                       // 0000000094D4: D0CB0028 000253F1
	v_add_u32_e32 v241, 64, v241                               // 0000000094DC: 69E3E2C0
	s_nop 0                                                    // 0000000094E0: BF800000
	v_cndmask_b32_e64 v137, v69, v137, s[40:41]                // 0000000094E4: D1000089 00A31345
	v_cmp_le_u32_e64 s[40:41], v242, v41                       // 0000000094EC: D0CB0028 000253F2
	v_add_u32_e32 v242, 64, v242                               // 0000000094F4: 69E5E4C0
	s_nop 0                                                    // 0000000094F8: BF800000
	v_cndmask_b32_e64 v138, v69, v138, s[40:41]                // 0000000094FC: D100008A 00A31545
	v_cmp_le_u32_e64 s[40:41], v243, v41                       // 000000009504: D0CB0028 000253F3
	v_add_u32_e32 v243, 64, v243                               // 00000000950C: 69E7E6C0
	s_nop 0                                                    // 000000009510: BF800000
	v_cndmask_b32_e64 v139, v69, v139, s[40:41]                // 000000009514: D100008B 00A31745
	v_cmp_le_u32_e64 s[40:41], v240, v41                       // 00000000951C: D0CB0028 000253F0
	v_add_u32_e32 v240, 64, v240                               // 000000009524: 69E1E0C0
	s_nop 0                                                    // 000000009528: BF800000
	v_cndmask_b32_e64 v140, v69, v140, s[40:41]                // 00000000952C: D100008C 00A31945
	v_cmp_le_u32_e64 s[40:41], v241, v41                       // 000000009534: D0CB0028 000253F1
	v_add_u32_e32 v241, 64, v241                               // 00000000953C: 69E3E2C0
	s_nop 0                                                    // 000000009540: BF800000
	v_cndmask_b32_e64 v141, v69, v141, s[40:41]                // 000000009544: D100008D 00A31B45
	v_cmp_le_u32_e64 s[40:41], v242, v41                       // 00000000954C: D0CB0028 000253F2
	v_add_u32_e32 v242, 64, v242                               // 000000009554: 69E5E4C0
	s_nop 0                                                    // 000000009558: BF800000
	v_cndmask_b32_e64 v142, v69, v142, s[40:41]                // 00000000955C: D100008E 00A31D45
	v_cmp_le_u32_e64 s[40:41], v243, v41                       // 000000009564: D0CB0028 000253F3
	v_add_u32_e32 v243, 64, v243                               // 00000000956C: 69E7E6C0
	s_nop 0                                                    // 000000009570: BF800000
	v_cndmask_b32_e64 v143, v69, v143, s[40:41]                // 000000009574: D100008F 00A31F45

000000000000957c <label_1CDF>:
	s_add_u32 s90, s91, s90                                    // 00000000957C: 805A5A5B
	s_and_b32 s60, s72, 0xff                                   // 000000009580: 863CFF48 000000FF
	v_mov_b32_e32 v42, s60                                     // 000000009588: 7E54023C
	v_lshrrev_b32_e32 v240, 4, v0                              // 00000000958C: 21E00084
	v_mul_i32_i24_e32 v240, 4, v240                            // 000000009590: 0DE1E084
	s_mul_i32 s60, s7, 16                                      // 000000009594: 923C9007
	v_add_u32_e32 v240, s60, v240                              // 000000009598: 69E1E03C
	v_add_u32_e32 v241, 1, v240                                // 00000000959C: 69E3E081
	v_add_u32_e32 v242, 2, v240                                // 0000000095A0: 69E5E082
	v_add_u32_e32 v243, 3, v240                                // 0000000095A4: 69E7E083
	v_mov_b32_e32 v41, 0xff800000                              // 0000000095A8: 7E5202FF FF800000
	v_cmp_lt_u32_e64 s[40:41], v240, v42                       // 0000000095B0: D0C90028 000255F0
	v_add_u32_e32 v240, 64, v240                               // 0000000095B8: 69E1E0C0
	s_nop 0                                                    // 0000000095BC: BF800000
	v_cndmask_b32_e64 v128, v41, v128, s[40:41]                // 0000000095C0: D1000080 00A30129
	v_cmp_lt_u32_e64 s[40:41], v241, v42                       // 0000000095C8: D0C90028 000255F1
	v_add_u32_e32 v241, 64, v241                               // 0000000095D0: 69E3E2C0
	s_nop 0                                                    // 0000000095D4: BF800000
	v_cndmask_b32_e64 v129, v41, v129, s[40:41]                // 0000000095D8: D1000081 00A30329
	v_cmp_lt_u32_e64 s[40:41], v242, v42                       // 0000000095E0: D0C90028 000255F2
	v_add_u32_e32 v242, 64, v242                               // 0000000095E8: 69E5E4C0
	s_nop 0                                                    // 0000000095EC: BF800000
	v_cndmask_b32_e64 v130, v41, v130, s[40:41]                // 0000000095F0: D1000082 00A30529
	v_cmp_lt_u32_e64 s[40:41], v243, v42                       // 0000000095F8: D0C90028 000255F3
	v_add_u32_e32 v243, 64, v243                               // 000000009600: 69E7E6C0
	s_nop 0                                                    // 000000009604: BF800000
	v_cndmask_b32_e64 v131, v41, v131, s[40:41]                // 000000009608: D1000083 00A30729
	v_cmp_lt_u32_e64 s[40:41], v240, v42                       // 000000009610: D0C90028 000255F0
	v_add_u32_e32 v240, 64, v240                               // 000000009618: 69E1E0C0
	s_nop 0                                                    // 00000000961C: BF800000
	v_cndmask_b32_e64 v132, v41, v132, s[40:41]                // 000000009620: D1000084 00A30929
	v_cmp_lt_u32_e64 s[40:41], v241, v42                       // 000000009628: D0C90028 000255F1
	v_add_u32_e32 v241, 64, v241                               // 000000009630: 69E3E2C0
	s_nop 0                                                    // 000000009634: BF800000
	v_cndmask_b32_e64 v133, v41, v133, s[40:41]                // 000000009638: D1000085 00A30B29
	v_cmp_lt_u32_e64 s[40:41], v242, v42                       // 000000009640: D0C90028 000255F2
	v_add_u32_e32 v242, 64, v242                               // 000000009648: 69E5E4C0
	s_nop 0                                                    // 00000000964C: BF800000
	v_cndmask_b32_e64 v134, v41, v134, s[40:41]                // 000000009650: D1000086 00A30D29
	v_cmp_lt_u32_e64 s[40:41], v243, v42                       // 000000009658: D0C90028 000255F3
	v_add_u32_e32 v243, 64, v243                               // 000000009660: 69E7E6C0
	s_nop 0                                                    // 000000009664: BF800000
	v_cndmask_b32_e64 v135, v41, v135, s[40:41]                // 000000009668: D1000087 00A30F29
	v_cmp_lt_u32_e64 s[40:41], v240, v42                       // 000000009670: D0C90028 000255F0
	v_add_u32_e32 v240, 64, v240                               // 000000009678: 69E1E0C0
	s_nop 0                                                    // 00000000967C: BF800000
	v_cndmask_b32_e64 v136, v41, v136, s[40:41]                // 000000009680: D1000088 00A31129
	v_cmp_lt_u32_e64 s[40:41], v241, v42                       // 000000009688: D0C90028 000255F1
	v_add_u32_e32 v241, 64, v241                               // 000000009690: 69E3E2C0
	s_nop 0                                                    // 000000009694: BF800000
	v_cndmask_b32_e64 v137, v41, v137, s[40:41]                // 000000009698: D1000089 00A31329
	v_cmp_lt_u32_e64 s[40:41], v242, v42                       // 0000000096A0: D0C90028 000255F2
	v_add_u32_e32 v242, 64, v242                               // 0000000096A8: 69E5E4C0
	s_nop 0                                                    // 0000000096AC: BF800000
	v_cndmask_b32_e64 v138, v41, v138, s[40:41]                // 0000000096B0: D100008A 00A31529
	v_cmp_lt_u32_e64 s[40:41], v243, v42                       // 0000000096B8: D0C90028 000255F3
	v_add_u32_e32 v243, 64, v243                               // 0000000096C0: 69E7E6C0
	s_nop 0                                                    // 0000000096C4: BF800000
	v_cndmask_b32_e64 v139, v41, v139, s[40:41]                // 0000000096C8: D100008B 00A31729
	v_cmp_lt_u32_e64 s[40:41], v240, v42                       // 0000000096D0: D0C90028 000255F0
	v_add_u32_e32 v240, 64, v240                               // 0000000096D8: 69E1E0C0
	s_nop 0                                                    // 0000000096DC: BF800000
	v_cndmask_b32_e64 v140, v41, v140, s[40:41]                // 0000000096E0: D100008C 00A31929
	v_cmp_lt_u32_e64 s[40:41], v241, v42                       // 0000000096E8: D0C90028 000255F1
	v_add_u32_e32 v241, 64, v241                               // 0000000096F0: 69E3E2C0
	s_nop 0                                                    // 0000000096F4: BF800000
	v_cndmask_b32_e64 v141, v41, v141, s[40:41]                // 0000000096F8: D100008D 00A31B29
	v_cmp_lt_u32_e64 s[40:41], v242, v42                       // 000000009700: D0C90028 000255F2
	v_add_u32_e32 v242, 64, v242                               // 000000009708: 69E5E4C0
	s_nop 0                                                    // 00000000970C: BF800000
	v_cndmask_b32_e64 v142, v41, v142, s[40:41]                // 000000009710: D100008E 00A31D29
	v_cmp_lt_u32_e64 s[40:41], v243, v42                       // 000000009718: D0C90028 000255F3
	v_add_u32_e32 v243, 64, v243                               // 000000009720: 69E7E6C0
	s_nop 0                                                    // 000000009724: BF800000
	v_cndmask_b32_e64 v143, v41, v143, s[40:41]                // 000000009728: D100008F 00A31F29
	v_mov_b32_e32 v62, v128                                    // 000000009730: 7E7C0380
	v_max3_f32 v62, v128, v129, v62                            // 000000009734: D1D3003E 04FB0380
	v_max3_f32 v62, v130, v131, v62                            // 00000000973C: D1D3003E 04FB0782
	v_max3_f32 v62, v132, v133, v62                            // 000000009744: D1D3003E 04FB0B84
	v_max3_f32 v62, v134, v135, v62                            // 00000000974C: D1D3003E 04FB0F86
	v_max3_f32 v62, v136, v137, v62                            // 000000009754: D1D3003E 04FB1388
	v_max3_f32 v62, v138, v139, v62                            // 00000000975C: D1D3003E 04FB178A
	v_max3_f32 v62, v140, v141, v62                            // 000000009764: D1D3003E 04FB1B8C
	v_max3_f32 v62, v142, v143, v62                            // 00000000976C: D1D3003E 04FB1F8E
	ds_write_b32 v11, v62 offset:16896                         // 000000009774: D81A4200 00003E0B
	v_mul_u32_u24_dpp v41, v20, v68 row_newbcast:1 row_mask:0xf bank_mask:0xf// 00000000977C: 105288FA FF015114
	v_mul_u32_u24_dpp v42, v20, v68 row_newbcast:5 row_mask:0xf bank_mask:0xf// 000000009784: 105488FA FF015514
	v_mul_u32_u24_dpp v43, v20, v68 row_newbcast:9 row_mask:0xf bank_mask:0xf// 00000000978C: 105688FA FF015914
	v_mul_u32_u24_dpp v44, v20, v68 row_newbcast:13 row_mask:0xf bank_mask:0xf// 000000009794: 105888FA FF015D14
	v_add_u32_e32 v37, v41, v7                                 // 00000000979C: 684A0F29
	v_add_u32_e32 v38, v42, v7                                 // 0000000097A0: 684C0F2A
	v_add_u32_e32 v39, v43, v7                                 // 0000000097A4: 684E0F2B
	v_add_u32_e32 v40, v44, v7                                 // 0000000097A8: 68500F2C
	v_mul_f32_e32 v224, v63, v224                              // 0000000097AC: 0BC1C13F
	v_mul_f32_e32 v225, v63, v225                              // 0000000097B0: 0BC3C33F
	v_mul_f32_e32 v226, v63, v226                              // 0000000097B4: 0BC5C53F
	v_mul_f32_e32 v227, v63, v227                              // 0000000097B8: 0BC7C73F
	v_mul_f32_e32 v228, v63, v228                              // 0000000097BC: 0BC9C93F
	v_mul_f32_e32 v229, v63, v229                              // 0000000097C0: 0BCBCB3F
	v_mul_f32_e32 v230, v63, v230                              // 0000000097C4: 0BCDCD3F
	v_mul_f32_e32 v231, v63, v231                              // 0000000097C8: 0BCFCF3F
	s_waitcnt lgkmcnt(0)                                       // 0000000097CC: BF8CC07F
	s_barrier                                                  // 0000000097D0: BF8A0000
	ds_read_b32 v80, v10 offset:16896                          // 0000000097D4: D86C4200 5000000A
	ds_read_b32 v81, v10 offset:16960                          // 0000000097DC: D86C4240 5100000A
	ds_read_b32 v82, v10 offset:17024                          // 0000000097E4: D86C4280 5200000A
	ds_read_b32 v83, v10 offset:17088                          // 0000000097EC: D86C42C0 5300000A
	ds_read_b32 v84, v10 offset:17152                          // 0000000097F4: D86C4300 5400000A
	ds_read_b32 v85, v10 offset:17216                          // 0000000097FC: D86C4340 5500000A
	ds_read_b32 v86, v10 offset:17280                          // 000000009804: D86C4380 5600000A
	ds_read_b32 v87, v10 offset:17344                          // 00000000980C: D86C43C0 5700000A
	ds_read_b32 v88, v10 offset:17408                          // 000000009814: D86C4400 5800000A
	ds_read_b32 v89, v10 offset:17472                          // 00000000981C: D86C4440 5900000A
	ds_read_b32 v90, v10 offset:17536                          // 000000009824: D86C4480 5A00000A
	ds_read_b32 v91, v10 offset:17600                          // 00000000982C: D86C44C0 5B00000A
	ds_read_b32 v92, v10 offset:17664                          // 000000009834: D86C4500 5C00000A
	ds_read_b32 v93, v10 offset:17728                          // 00000000983C: D86C4540 5D00000A
	ds_read_b32 v94, v10 offset:17792                          // 000000009844: D86C4580 5E00000A
	ds_read_b32 v95, v10 offset:17856                          // 00000000984C: D86C45C0 5F00000A
	v_cvt_f32_i32_e32 v192, v192                               // 000000009854: 7F800BC0
	v_cvt_f32_i32_e32 v193, v193                               // 000000009858: 7F820BC1
	v_cvt_f32_i32_e32 v194, v194                               // 00000000985C: 7F840BC2
	v_cvt_f32_i32_e32 v195, v195                               // 000000009860: 7F860BC3
	v_cvt_f32_i32_e32 v196, v196                               // 000000009864: 7F880BC4
	v_cvt_f32_i32_e32 v197, v197                               // 000000009868: 7F8A0BC5
	v_cvt_f32_i32_e32 v198, v198                               // 00000000986C: 7F8C0BC6
	v_cvt_f32_i32_e32 v199, v199                               // 000000009870: 7F8E0BC7
	v_mul_f32_e32 v192, v58, v192                              // 000000009874: 0B81813A
	v_mul_f32_e32 v193, v58, v193                              // 000000009878: 0B83833A
	v_mul_f32_e32 v194, v58, v194                              // 00000000987C: 0B85853A
	v_mul_f32_e32 v195, v58, v195                              // 000000009880: 0B87873A
	v_mul_f32_e32 v196, v58, v196                              // 000000009884: 0B89893A
	v_mul_f32_e32 v197, v58, v197                              // 000000009888: 0B8B8B3A
	v_mul_f32_e32 v198, v58, v198                              // 00000000988C: 0B8D8D3A
	v_mul_f32_e32 v199, v58, v199                              // 000000009890: 0B8F8F3A
	s_waitcnt lgkmcnt(0)                                       // 000000009894: BF8CC07F
	v_max3_f32 v62, v80, v81, v62                              // 000000009898: D1D3003E 04FAA350
	v_max3_f32 v62, v82, v83, v62                              // 0000000098A0: D1D3003E 04FAA752
	v_max3_f32 v62, v84, v85, v62                              // 0000000098A8: D1D3003E 04FAAB54
	v_max3_f32 v62, v86, v87, v62                              // 0000000098B0: D1D3003E 04FAAF56
	v_max3_f32 v62, v88, v89, v62                              // 0000000098B8: D1D3003E 04FAB358
	v_max3_f32 v62, v90, v91, v62                              // 0000000098C0: D1D3003E 04FAB75A
	v_max3_f32 v62, v92, v93, v62                              // 0000000098C8: D1D3003E 04FABB5C
	v_max3_f32 v62, v94, v95, v62                              // 0000000098D0: D1D3003E 04FABF5E
	v_mov_b32_e32 v41, 0xff800000                              // 0000000098D8: 7E5202FF FF800000
	v_cmp_eq_u32_e64 s[40:41], v41, v14                        // 0000000098E0: D0CA0028 00021D29
	s_nop 1                                                    // 0000000098E8: BF800001
	v_max_f32_e32 v18, v62, v14                                // 0000000098EC: 16241D3E
	v_mul_f32_e32 v67, s64, v18                                // 0000000098F0: 0A862440
	v_fma_f32 v128, v128, s64, -v67                            // 0000000098F4: D1CB0080 850C8180
	v_fma_f32 v129, v129, s64, -v67                            // 0000000098FC: D1CB0081 850C8181
	v_fma_f32 v130, v130, s64, -v67                            // 000000009904: D1CB0082 850C8182
	v_fma_f32 v131, v131, s64, -v67                            // 00000000990C: D1CB0083 850C8183
	v_fma_f32 v132, v132, s64, -v67                            // 000000009914: D1CB0084 850C8184
	v_fma_f32 v133, v133, s64, -v67                            // 00000000991C: D1CB0085 850C8185
	v_fma_f32 v134, v134, s64, -v67                            // 000000009924: D1CB0086 850C8186
	v_fma_f32 v135, v135, s64, -v67                            // 00000000992C: D1CB0087 850C8187
	v_fma_f32 v136, v136, s64, -v67                            // 000000009934: D1CB0088 850C8188
	v_fma_f32 v137, v137, s64, -v67                            // 00000000993C: D1CB0089 850C8189
	v_fma_f32 v138, v138, s64, -v67                            // 000000009944: D1CB008A 850C818A
	v_fma_f32 v139, v139, s64, -v67                            // 00000000994C: D1CB008B 850C818B
	v_fma_f32 v140, v140, s64, -v67                            // 000000009954: D1CB008C 850C818C
	v_fma_f32 v141, v141, s64, -v67                            // 00000000995C: D1CB008D 850C818D
	v_fma_f32 v142, v142, s64, -v67                            // 000000009964: D1CB008E 850C818E
	v_fma_f32 v143, v143, s64, -v67                            // 00000000996C: D1CB008F 850C818F
	v_exp_f32_e32 v128, v128                                   // 000000009974: 7F004180
	v_exp_f32_e32 v129, v129                                   // 000000009978: 7F024181
	v_exp_f32_e32 v130, v130                                   // 00000000997C: 7F044182
	v_exp_f32_e32 v131, v131                                   // 000000009980: 7F064183
	v_exp_f32_e32 v132, v132                                   // 000000009984: 7F084184
	v_exp_f32_e32 v133, v133                                   // 000000009988: 7F0A4185
	v_exp_f32_e32 v134, v134                                   // 00000000998C: 7F0C4186
	v_exp_f32_e32 v135, v135                                   // 000000009990: 7F0E4187
	v_exp_f32_e32 v136, v136                                   // 000000009994: 7F104188
	v_exp_f32_e32 v137, v137                                   // 000000009998: 7F124189
	v_exp_f32_e32 v138, v138                                   // 00000000999C: 7F14418A
	v_exp_f32_e32 v139, v139                                   // 0000000099A0: 7F16418B
	v_exp_f32_e32 v140, v140                                   // 0000000099A4: 7F18418C
	v_exp_f32_e32 v141, v141                                   // 0000000099A8: 7F1A418D
	v_exp_f32_e32 v142, v142                                   // 0000000099AC: 7F1C418E
	v_exp_f32_e32 v143, v143                                   // 0000000099B0: 7F1E418F
	v_mul_f32_dpp v240, v252, v128 quad_perm:[0,0,0,0] row_mask:0xf bank_mask:0xf// 0000000099B4: 0BE100FA FF0000FC
	v_mul_f32_dpp v241, v252, v129 quad_perm:[1,1,1,1] row_mask:0xf bank_mask:0xf// 0000000099BC: 0BE302FA FF0055FC
	v_mul_f32_dpp v242, v252, v130 quad_perm:[2,2,2,2] row_mask:0xf bank_mask:0xf// 0000000099C4: 0BE504FA FF00AAFC
	v_mul_f32_dpp v243, v252, v131 quad_perm:[3,3,3,3] row_mask:0xf bank_mask:0xf// 0000000099CC: 0BE706FA FF00FFFC
	v_mul_f32_dpp v244, v253, v132 quad_perm:[0,0,0,0] row_mask:0xf bank_mask:0xf// 0000000099D4: 0BE908FA FF0000FD
	v_mul_f32_dpp v245, v253, v133 quad_perm:[1,1,1,1] row_mask:0xf bank_mask:0xf// 0000000099DC: 0BEB0AFA FF0055FD
	v_mul_f32_dpp v246, v253, v134 quad_perm:[2,2,2,2] row_mask:0xf bank_mask:0xf// 0000000099E4: 0BED0CFA FF00AAFD
	v_mul_f32_dpp v247, v253, v135 quad_perm:[3,3,3,3] row_mask:0xf bank_mask:0xf// 0000000099EC: 0BEF0EFA FF00FFFD
	v_mul_f32_dpp v248, v254, v136 quad_perm:[0,0,0,0] row_mask:0xf bank_mask:0xf// 0000000099F4: 0BF110FA FF0000FE
	v_mul_f32_dpp v249, v254, v137 quad_perm:[1,1,1,1] row_mask:0xf bank_mask:0xf// 0000000099FC: 0BF312FA FF0055FE
	v_mul_f32_dpp v250, v254, v138 quad_perm:[2,2,2,2] row_mask:0xf bank_mask:0xf// 000000009A04: 0BF514FA FF00AAFE
	v_mul_f32_dpp v251, v254, v139 quad_perm:[3,3,3,3] row_mask:0xf bank_mask:0xf// 000000009A0C: 0BF716FA FF00FFFE
	v_mul_f32_dpp v252, v255, v140 quad_perm:[0,0,0,0] row_mask:0xf bank_mask:0xf// 000000009A14: 0BF918FA FF0000FF
	v_mul_f32_dpp v253, v255, v141 quad_perm:[1,1,1,1] row_mask:0xf bank_mask:0xf// 000000009A1C: 0BFB1AFA FF0055FF
	v_mul_f32_dpp v254, v255, v142 quad_perm:[2,2,2,2] row_mask:0xf bank_mask:0xf// 000000009A24: 0BFD1CFA FF00AAFF
	v_mul_f32_dpp v255, v255, v143 quad_perm:[3,3,3,3] row_mask:0xf bank_mask:0xf// 000000009A2C: 0BFF1EFA FF00FFFF
	v_mov_b32_e32 v62, 0x358637bd                              // 000000009A34: 7E7C02FF 358637BD
	v_max3_f32 v62, |v240|, |v241|, v62                        // 000000009A3C: D1D3033E 04FBE3F0
	v_max3_f32 v62, |v242|, |v243|, v62                        // 000000009A44: D1D3033E 04FBE7F2
	v_max3_f32 v62, |v244|, |v245|, v62                        // 000000009A4C: D1D3033E 04FBEBF4
	v_max3_f32 v62, |v246|, |v247|, v62                        // 000000009A54: D1D3033E 04FBEFF6
	v_max3_f32 v62, |v248|, |v249|, v62                        // 000000009A5C: D1D3033E 04FBF3F8
	v_max3_f32 v62, |v250|, |v251|, v62                        // 000000009A64: D1D3033E 04FBF7FA
	v_max3_f32 v62, |v252|, |v253|, v62                        // 000000009A6C: D1D3033E 04FBFBFC
	v_max3_f32 v62, |v254|, |v255|, v62                        // 000000009A74: D1D3033E 04FBFFFE
	ds_write_b32 v11, v62 offset:20992                         // 000000009A7C: D81A5200 00003E0B
	v_sub_f32_e32 v63, v14, v18                                // 000000009A84: 047E250E
	v_cndmask_b32_e64 v63, v63, 0, s[40:41]                    // 000000009A88: D100003F 00A1013F
	v_mov_b32_e32 v14, v18                                     // 000000009A90: 7E1C0312
	v_mul_f32_e32 v63, s64, v63                                // 000000009A94: 0A7E7E40
	v_exp_f32_e32 v63, v63                                     // 000000009A98: 7E7E413F
	s_waitcnt lgkmcnt(0)                                       // 000000009A9C: BF8CC07F
	s_barrier                                                  // 000000009AA0: BF8A0000
	ds_read_b32 v80, v10 offset:20992                          // 000000009AA4: D86C5200 5000000A
	ds_read_b32 v81, v10 offset:21056                          // 000000009AAC: D86C5240 5100000A
	ds_read_b32 v82, v10 offset:21120                          // 000000009AB4: D86C5280 5200000A
	ds_read_b32 v83, v10 offset:21184                          // 000000009ABC: D86C52C0 5300000A
	ds_read_b32 v84, v10 offset:21248                          // 000000009AC4: D86C5300 5400000A
	ds_read_b32 v85, v10 offset:21312                          // 000000009ACC: D86C5340 5500000A
	ds_read_b32 v86, v10 offset:21376                          // 000000009AD4: D86C5380 5600000A
	ds_read_b32 v87, v10 offset:21440                          // 000000009ADC: D86C53C0 5700000A
	ds_read_b32 v88, v10 offset:21504                          // 000000009AE4: D86C5400 5800000A
	ds_read_b32 v89, v10 offset:21568                          // 000000009AEC: D86C5440 5900000A
	ds_read_b32 v90, v10 offset:21632                          // 000000009AF4: D86C5480 5A00000A
	ds_read_b32 v91, v10 offset:21696                          // 000000009AFC: D86C54C0 5B00000A
	ds_read_b32 v92, v10 offset:21760                          // 000000009B04: D86C5500 5C00000A
	ds_read_b32 v93, v10 offset:21824                          // 000000009B0C: D86C5540 5D00000A
	ds_read_b32 v94, v10 offset:21888                          // 000000009B14: D86C5580 5E00000A
	ds_read_b32 v95, v10 offset:21952                          // 000000009B1C: D86C55C0 5F00000A
	v_mul_f32_e32 v47, v63, v47                                // 000000009B24: 0A5E5F3F
	v_mov_b32_e32 v18, v128                                    // 000000009B28: 7E240380
	v_add_f32_e32 v18, v129, v18                               // 000000009B2C: 02242581
	v_add_f32_e32 v18, v130, v18                               // 000000009B30: 02242582
	v_add_f32_e32 v18, v131, v18                               // 000000009B34: 02242583
	v_add_f32_e32 v18, v132, v18                               // 000000009B38: 02242584
	v_add_f32_e32 v18, v133, v18                               // 000000009B3C: 02242585
	v_add_f32_e32 v18, v134, v18                               // 000000009B40: 02242586
	v_add_f32_e32 v18, v135, v18                               // 000000009B44: 02242587
	v_add_f32_e32 v18, v136, v18                               // 000000009B48: 02242588
	v_add_f32_e32 v18, v137, v18                               // 000000009B4C: 02242589
	v_add_f32_e32 v18, v138, v18                               // 000000009B50: 0224258A
	v_add_f32_e32 v18, v139, v18                               // 000000009B54: 0224258B
	v_add_f32_e32 v18, v140, v18                               // 000000009B58: 0224258C
	v_add_f32_e32 v18, v141, v18                               // 000000009B5C: 0224258D
	v_add_f32_e32 v18, v142, v18                               // 000000009B60: 0224258E
	v_add_f32_e32 v18, v143, v18                               // 000000009B64: 0224258F
	v_add_f32_e32 v47, v18, v47                                // 000000009B68: 025E5F12
	s_waitcnt lgkmcnt(0)                                       // 000000009B6C: BF8CC07F
	v_max3_f32 v62, |v80|, |v81|, v62                          // 000000009B70: D1D3033E 04FAA350
	v_max3_f32 v62, |v82|, |v83|, v62                          // 000000009B78: D1D3033E 04FAA752
	v_max3_f32 v62, |v84|, |v85|, v62                          // 000000009B80: D1D3033E 04FAAB54
	v_max3_f32 v62, |v86|, |v87|, v62                          // 000000009B88: D1D3033E 04FAAF56
	v_max3_f32 v62, |v88|, |v89|, v62                          // 000000009B90: D1D3033E 04FAB358
	v_max3_f32 v62, |v90|, |v91|, v62                          // 000000009B98: D1D3033E 04FAB75A
	v_max3_f32 v62, |v92|, |v93|, v62                          // 000000009BA0: D1D3033E 04FABB5C
	v_max3_f32 v62, |v94|, |v95|, v62                          // 000000009BA8: D1D3033E 04FABF5E
	s_nop 2                                                    // 000000009BB0: BF800002
	v_rcp_f32_e32 v62, v62                                     // 000000009BB4: 7E7C453E
	s_nop 1                                                    // 000000009BB8: BF800001
	v_mul_f32_e32 v62, 0x42fe0000, v62                         // 000000009BBC: 0A7C7CFF 42FE0000
	v_mul_f32_e32 v128, v62, v240                              // 000000009BC4: 0B01E13E
	v_mul_f32_e32 v129, v62, v241                              // 000000009BC8: 0B03E33E
	v_mul_f32_e32 v130, v62, v242                              // 000000009BCC: 0B05E53E
	v_mul_f32_e32 v131, v62, v243                              // 000000009BD0: 0B07E73E
	v_mul_f32_e32 v132, v62, v244                              // 000000009BD4: 0B09E93E
	v_mul_f32_e32 v133, v62, v245                              // 000000009BD8: 0B0BEB3E
	v_mul_f32_e32 v134, v62, v246                              // 000000009BDC: 0B0DED3E
	v_mul_f32_e32 v135, v62, v247                              // 000000009BE0: 0B0FEF3E
	v_mul_f32_e32 v136, v62, v248                              // 000000009BE4: 0B11F13E
	v_mul_f32_e32 v137, v62, v249                              // 000000009BE8: 0B13F33E
	v_mul_f32_e32 v138, v62, v250                              // 000000009BEC: 0B15F53E
	v_mul_f32_e32 v139, v62, v251                              // 000000009BF0: 0B17F73E
	v_mul_f32_e32 v140, v62, v252                              // 000000009BF4: 0B19F93E
	v_mul_f32_e32 v141, v62, v253                              // 000000009BF8: 0B1BFB3E
	v_mul_f32_e32 v142, v62, v254                              // 000000009BFC: 0B1DFD3E
	v_mul_f32_e32 v143, v62, v255                              // 000000009C00: 0B1FFF3E
	v_cvt_i32_f32_e32 v128, v128                               // 000000009C04: 7F001180
	v_cvt_i32_f32_e32 v129, v129                               // 000000009C08: 7F021181
	v_cvt_i32_f32_e32 v130, v130                               // 000000009C0C: 7F041182
	v_cvt_i32_f32_e32 v131, v131                               // 000000009C10: 7F061183
	v_cvt_i32_f32_e32 v132, v132                               // 000000009C14: 7F081184
	v_cvt_i32_f32_e32 v133, v133                               // 000000009C18: 7F0A1185
	v_cvt_i32_f32_e32 v134, v134                               // 000000009C1C: 7F0C1186
	v_cvt_i32_f32_e32 v135, v135                               // 000000009C20: 7F0E1187
	v_cvt_i32_f32_e32 v136, v136                               // 000000009C24: 7F101188
	v_cvt_i32_f32_e32 v137, v137                               // 000000009C28: 7F121189
	v_cvt_i32_f32_e32 v138, v138                               // 000000009C2C: 7F14118A
	v_cvt_i32_f32_e32 v139, v139                               // 000000009C30: 7F16118B
	v_cvt_i32_f32_e32 v140, v140                               // 000000009C34: 7F18118C
	v_cvt_i32_f32_e32 v141, v141                               // 000000009C38: 7F1A118D
	v_cvt_i32_f32_e32 v142, v142                               // 000000009C3C: 7F1C118E
	v_cvt_i32_f32_e32 v143, v143                               // 000000009C40: 7F1E118F
	v_perm_b32 v128, v129, v128, s53                           // 000000009C44: D1ED0080 00D70181
	v_perm_b32 v128, v130, v128, s54                           // 000000009C4C: D1ED0080 00DB0182
	v_perm_b32 v128, v131, v128, s55                           // 000000009C54: D1ED0080 00DF0183
	v_perm_b32 v129, v133, v132, s53                           // 000000009C5C: D1ED0081 00D70985
	v_perm_b32 v129, v134, v129, s54                           // 000000009C64: D1ED0081 00DB0386
	v_perm_b32 v129, v135, v129, s55                           // 000000009C6C: D1ED0081 00DF0387
	v_perm_b32 v130, v137, v136, s53                           // 000000009C74: D1ED0082 00D71189
	v_perm_b32 v130, v138, v130, s54                           // 000000009C7C: D1ED0082 00DB058A
	v_perm_b32 v130, v139, v130, s55                           // 000000009C84: D1ED0082 00DF058B
	v_perm_b32 v131, v141, v140, s53                           // 000000009C8C: D1ED0083 00D7198D
	v_perm_b32 v131, v142, v131, s54                           // 000000009C94: D1ED0083 00DB078E
	v_perm_b32 v131, v143, v131, s55                           // 000000009C9C: D1ED0083 00DF078F
	ds_write_b32 v13, v128 offset:25088                        // 000000009CA4: D81A6200 0000800D
	ds_write_b32 v13, v129 offset:26112                        // 000000009CAC: D81A6600 0000810D
	ds_write_b32 v13, v130 offset:27136                        // 000000009CB4: D81A6A00 0000820D
	ds_write_b32 v13, v131 offset:28160                        // 000000009CBC: D81A6E00 0000830D
	v_add_f32_e32 v224, v224, v192                             // 000000009CC4: 03C181E0
	v_add_f32_e32 v225, v225, v193                             // 000000009CC8: 03C383E1
	v_add_f32_e32 v226, v226, v194                             // 000000009CCC: 03C585E2
	v_add_f32_e32 v227, v227, v195                             // 000000009CD0: 03C787E3
	v_add_f32_e32 v228, v228, v196                             // 000000009CD4: 03C989E4
	v_add_f32_e32 v229, v229, v197                             // 000000009CD8: 03CB8BE5
	v_add_f32_e32 v230, v230, v198                             // 000000009CDC: 03CD8DE6
	v_add_f32_e32 v231, v231, v199                             // 000000009CE0: 03CF8FE7
	v_rcp_f32_e32 v58, v62                                     // 000000009CE4: 7E74453E
	s_waitcnt lgkmcnt(0)                                       // 000000009CE8: BF8CC07F
	s_barrier                                                  // 000000009CEC: BF8A0000
	ds_read_b64 v[128:129], v12 offset:25088                   // 000000009CF0: D8EC6200 8000000C
	ds_read_b64 v[130:131], v12 offset:25216                   // 000000009CF8: D8EC6280 8200000C
	ds_read_b64 v[132:133], v12 offset:26112                   // 000000009D00: D8EC6600 8400000C
	ds_read_b64 v[134:135], v12 offset:26240                   // 000000009D08: D8EC6680 8600000C
	ds_read_b64 v[136:137], v12 offset:27136                   // 000000009D10: D8EC6A00 8800000C
	ds_read_b64 v[138:139], v12 offset:27264                   // 000000009D18: D8EC6A80 8A00000C
	ds_read_b64 v[140:141], v12 offset:28160                   // 000000009D20: D8EC6E00 8C00000C
	ds_read_b64 v[142:143], v12 offset:28288                   // 000000009D28: D8EC6E80 8E00000C
	s_waitcnt vmcnt(0)                                         // 000000009D30: BF8C0F70
	s_barrier                                                  // 000000009D34: BF8A0000
	s_waitcnt lgkmcnt(7)                                       // 000000009D38: BF8CC77F
	v_mfma_i32_16x16x32_i8 v[192:195], a[64:65], v[128:129], 0 // 000000009D3C: D3D700C0 0A030140
	s_waitcnt lgkmcnt(6)                                       // 000000009D44: BF8CC67F
	v_mfma_i32_16x16x32_i8 v[192:195], a[66:67], v[130:131], v[192:195]// 000000009D48: D3D700C0 0F030542
	s_waitcnt lgkmcnt(5)                                       // 000000009D50: BF8CC57F
	v_mfma_i32_16x16x32_i8 v[192:195], a[68:69], v[132:133], v[192:195]// 000000009D54: D3D700C0 0F030944
	s_waitcnt lgkmcnt(4)                                       // 000000009D5C: BF8CC47F
	v_mfma_i32_16x16x32_i8 v[192:195], a[70:71], v[134:135], v[192:195]// 000000009D60: D3D700C0 0F030D46
	s_waitcnt lgkmcnt(3)                                       // 000000009D68: BF8CC37F
	v_mfma_i32_16x16x32_i8 v[192:195], a[72:73], v[136:137], v[192:195]// 000000009D6C: D3D700C0 0F031148
	s_waitcnt lgkmcnt(2)                                       // 000000009D74: BF8CC27F
	v_mfma_i32_16x16x32_i8 v[192:195], a[74:75], v[138:139], v[192:195]// 000000009D78: D3D700C0 0F03154A
	s_waitcnt lgkmcnt(1)                                       // 000000009D80: BF8CC17F
	v_mfma_i32_16x16x32_i8 v[192:195], a[76:77], v[140:141], v[192:195]// 000000009D84: D3D700C0 0F03194C
	s_waitcnt lgkmcnt(0)                                       // 000000009D8C: BF8CC07F
	v_mfma_i32_16x16x32_i8 v[192:195], a[78:79], v[142:143], v[192:195]// 000000009D90: D3D700C0 0F031D4E
	v_mfma_i32_16x16x32_i8 v[196:199], a[80:81], v[128:129], 0 // 000000009D98: D3D700C4 0A030150
	v_mfma_i32_16x16x32_i8 v[196:199], a[82:83], v[130:131], v[196:199]// 000000009DA0: D3D700C4 0F130552
	v_mfma_i32_16x16x32_i8 v[196:199], a[84:85], v[132:133], v[196:199]// 000000009DA8: D3D700C4 0F130954
	v_mfma_i32_16x16x32_i8 v[196:199], a[86:87], v[134:135], v[196:199]// 000000009DB0: D3D700C4 0F130D56
	v_mfma_i32_16x16x32_i8 v[196:199], a[88:89], v[136:137], v[196:199]// 000000009DB8: D3D700C4 0F131158
	v_mfma_i32_16x16x32_i8 v[196:199], a[90:91], v[138:139], v[196:199]// 000000009DC0: D3D700C4 0F13155A
	v_mfma_i32_16x16x32_i8 v[196:199], a[92:93], v[140:141], v[196:199]// 000000009DC8: D3D700C4 0F13195C
	v_mfma_i32_16x16x32_i8 v[196:199], a[94:95], v[142:143], v[196:199]// 000000009DD0: D3D700C4 0F131D5E
	s_nop 4                                                    // 000000009DD8: BF800004
	s_branch label_221C                                        // 000000009DDC: BF820324

0000000000009de0 <label_1EF8>:
	s_waitcnt vmcnt(8) lgkmcnt(0)                              // 000000009DE0: BF8C0078
	s_barrier                                                  // 000000009DE4: BF8A0000
	v_mfma_i32_16x16x32_i8 v[128:131], a[32:33], v[96:97], 0   // 000000009DE8: D3D70080 0A02C120
	v_mfma_i32_16x16x32_i8 v[128:131], a[34:35], v[98:99], v[128:131]// 000000009DF0: D3D70080 0E02C522
	v_mfma_i32_16x16x32_i8 v[128:131], a[36:37], v[100:101], v[128:131]// 000000009DF8: D3D70080 0E02C924
	v_mfma_i32_16x16x32_i8 v[128:131], a[38:39], v[102:103], v[128:131]// 000000009E00: D3D70080 0E02CD26
	v_mfma_i32_16x16x32_i8 v[132:135], a[40:41], v[96:97], 0   // 000000009E08: D3D70084 0A02C128
	v_mfma_i32_16x16x32_i8 v[132:135], a[42:43], v[98:99], v[132:135]// 000000009E10: D3D70084 0E12C52A
	v_mfma_i32_16x16x32_i8 v[132:135], a[44:45], v[100:101], v[132:135]// 000000009E18: D3D70084 0E12C92C
	v_mfma_i32_16x16x32_i8 v[132:135], a[46:47], v[102:103], v[132:135]// 000000009E20: D3D70084 0E12CD2E
	v_mfma_i32_16x16x32_i8 v[136:139], a[48:49], v[96:97], 0   // 000000009E28: D3D70088 0A02C130
	v_mfma_i32_16x16x32_i8 v[136:139], a[50:51], v[98:99], v[136:139]// 000000009E30: D3D70088 0E22C532
	v_mfma_i32_16x16x32_i8 v[136:139], a[52:53], v[100:101], v[136:139]// 000000009E38: D3D70088 0E22C934
	v_mfma_i32_16x16x32_i8 v[136:139], a[54:55], v[102:103], v[136:139]// 000000009E40: D3D70088 0E22CD36
	v_mfma_i32_16x16x32_i8 v[140:143], a[56:57], v[96:97], 0   // 000000009E48: D3D7008C 0A02C138
	v_mfma_i32_16x16x32_i8 v[140:143], a[58:59], v[98:99], v[140:143]// 000000009E50: D3D7008C 0E32C53A
	v_mfma_i32_16x16x32_i8 v[140:143], a[60:61], v[100:101], v[140:143]// 000000009E58: D3D7008C 0E32C93C
	v_mfma_i32_16x16x32_i8 v[140:143], a[62:63], v[102:103], v[140:143]// 000000009E60: D3D7008C 0E32CD3E
	v_mov_b32_dpp v41, v53 row_shr:4 row_mask:0xf bank_mask:0xf// 000000009E68: 7E5202FA FF011435
	v_mov_b32_dpp v42, v53 row_shl:4 row_mask:0xf bank_mask:0xf// 000000009E70: 7E5402FA FF010435
	v_cndmask_b32_e64 v248, v53, v41, s[44:45]                 // 000000009E78: D10000F8 00B25335
	v_cndmask_b32_e64 v249, v42, v53, s[44:45]                 // 000000009E80: D10000F9 00B26B2A
	v_mov_b32_dpp v41, v248 row_shr:8 row_mask:0xf bank_mask:0xf// 000000009E88: 7E5202FA FF0118F8
	v_mov_b32_dpp v42, v248 row_shl:8 row_mask:0xf bank_mask:0xf// 000000009E90: 7E5402FA FF0108F8
	v_mov_b32_dpp v43, v249 row_shr:8 row_mask:0xf bank_mask:0xf// 000000009E98: 7E5602FA FF0118F9
	v_mov_b32_dpp v44, v249 row_shl:8 row_mask:0xf bank_mask:0xf// 000000009EA0: 7E5802FA FF0108F9
	v_mov_b32_e32 v45, v248                                    // 000000009EA8: 7E5A03F8
	v_mov_b32_e32 v46, v249                                    // 000000009EAC: 7E5C03F9
	v_cndmask_b32_e64 v248, v45, v41, s[42:43]                 // 000000009EB0: D10000F8 00AA532D
	v_cndmask_b32_e64 v250, v45, v42, s[78:79]                 // 000000009EB8: D10000FA 013A552D
	v_cndmask_b32_e64 v249, v46, v43, s[42:43]                 // 000000009EC0: D10000F9 00AA572E
	v_cndmask_b32_e64 v251, v46, v44, s[78:79]                 // 000000009EC8: D10000FB 013A592E
	v_mov_b32_dpp v41, v73 row_shr:4 row_mask:0xf bank_mask:0xf// 000000009ED0: 7E5202FA FF011449
	v_mov_b32_dpp v42, v73 row_shl:4 row_mask:0xf bank_mask:0xf// 000000009ED8: 7E5402FA FF010449
	v_cndmask_b32_e64 v252, v73, v41, s[44:45]                 // 000000009EE0: D10000FC 00B25349
	v_cndmask_b32_e64 v253, v42, v73, s[44:45]                 // 000000009EE8: D10000FD 00B2932A
	v_mov_b32_dpp v41, v252 row_shr:8 row_mask:0xf bank_mask:0xf// 000000009EF0: 7E5202FA FF0118FC
	v_mov_b32_dpp v42, v252 row_shl:8 row_mask:0xf bank_mask:0xf// 000000009EF8: 7E5402FA FF0108FC
	v_mov_b32_dpp v43, v253 row_shr:8 row_mask:0xf bank_mask:0xf// 000000009F00: 7E5602FA FF0118FD
	v_mov_b32_dpp v44, v253 row_shl:8 row_mask:0xf bank_mask:0xf// 000000009F08: 7E5802FA FF0108FD
	v_mov_b32_e32 v45, v252                                    // 000000009F10: 7E5A03FC
	v_mov_b32_e32 v46, v253                                    // 000000009F14: 7E5C03FD
	v_cndmask_b32_e64 v252, v45, v41, s[42:43]                 // 000000009F18: D10000FC 00AA532D
	v_cndmask_b32_e64 v254, v45, v42, s[78:79]                 // 000000009F20: D10000FE 013A552D
	v_cndmask_b32_e64 v253, v46, v43, s[42:43]                 // 000000009F28: D10000FD 00AA572E
	v_cndmask_b32_e64 v255, v46, v44, s[78:79]                 // 000000009F30: D10000FF 013A592E
	v_cvt_f32_i32_e32 v128, v128                               // 000000009F38: 7F000B80
	v_cvt_f32_i32_e32 v129, v129                               // 000000009F3C: 7F020B81
	v_cvt_f32_i32_e32 v130, v130                               // 000000009F40: 7F040B82
	v_cvt_f32_i32_e32 v131, v131                               // 000000009F44: 7F060B83
	v_cvt_f32_i32_e32 v132, v132                               // 000000009F48: 7F080B84
	v_cvt_f32_i32_e32 v133, v133                               // 000000009F4C: 7F0A0B85
	v_cvt_f32_i32_e32 v134, v134                               // 000000009F50: 7F0C0B86
	v_cvt_f32_i32_e32 v135, v135                               // 000000009F54: 7F0E0B87
	v_cvt_f32_i32_e32 v136, v136                               // 000000009F58: 7F100B88
	v_cvt_f32_i32_e32 v137, v137                               // 000000009F5C: 7F120B89
	v_cvt_f32_i32_e32 v138, v138                               // 000000009F60: 7F140B8A
	v_cvt_f32_i32_e32 v139, v139                               // 000000009F64: 7F160B8B
	v_cvt_f32_i32_e32 v140, v140                               // 000000009F68: 7F180B8C
	v_cvt_f32_i32_e32 v141, v141                               // 000000009F6C: 7F1A0B8D
	v_cvt_f32_i32_e32 v142, v142                               // 000000009F70: 7F1C0B8E
	v_cvt_f32_i32_e32 v143, v143                               // 000000009F74: 7F1E0B8F
	v_mul_f32_e32 v128, v54, v128                              // 000000009F78: 0B010136
	v_mul_f32_e32 v129, v54, v129                              // 000000009F7C: 0B030336
	v_mul_f32_e32 v130, v54, v130                              // 000000009F80: 0B050536
	v_mul_f32_e32 v131, v54, v131                              // 000000009F84: 0B070736
	v_mul_f32_e32 v132, v54, v132                              // 000000009F88: 0B090936
	v_mul_f32_e32 v133, v54, v133                              // 000000009F8C: 0B0B0B36
	v_mul_f32_e32 v134, v54, v134                              // 000000009F90: 0B0D0D36
	v_mul_f32_e32 v135, v54, v135                              // 000000009F94: 0B0F0F36
	v_mul_f32_e32 v136, v54, v136                              // 000000009F98: 0B111136
	v_mul_f32_e32 v137, v54, v137                              // 000000009F9C: 0B131336
	v_mul_f32_e32 v138, v54, v138                              // 000000009FA0: 0B151536
	v_mul_f32_e32 v139, v54, v139                              // 000000009FA4: 0B171736
	v_mul_f32_e32 v140, v54, v140                              // 000000009FA8: 0B191936
	v_mul_f32_e32 v141, v54, v141                              // 000000009FAC: 0B1B1B36
	v_mul_f32_e32 v142, v54, v142                              // 000000009FB0: 0B1D1D36
	v_mul_f32_e32 v143, v54, v143                              // 000000009FB4: 0B1F1F36
	v_mul_f32_dpp v128, v248, v128 quad_perm:[0,0,0,0] row_mask:0xf bank_mask:0xf// 000000009FB8: 0B0100FA FF0000F8
	v_mul_f32_dpp v129, v248, v129 quad_perm:[1,1,1,1] row_mask:0xf bank_mask:0xf// 000000009FC0: 0B0302FA FF0055F8
	v_mul_f32_dpp v130, v248, v130 quad_perm:[2,2,2,2] row_mask:0xf bank_mask:0xf// 000000009FC8: 0B0504FA FF00AAF8
	v_mul_f32_dpp v131, v248, v131 quad_perm:[3,3,3,3] row_mask:0xf bank_mask:0xf// 000000009FD0: 0B0706FA FF00FFF8
	v_mul_f32_dpp v132, v249, v132 quad_perm:[0,0,0,0] row_mask:0xf bank_mask:0xf// 000000009FD8: 0B0908FA FF0000F9
	v_mul_f32_dpp v133, v249, v133 quad_perm:[1,1,1,1] row_mask:0xf bank_mask:0xf// 000000009FE0: 0B0B0AFA FF0055F9
	v_mul_f32_dpp v134, v249, v134 quad_perm:[2,2,2,2] row_mask:0xf bank_mask:0xf// 000000009FE8: 0B0D0CFA FF00AAF9
	v_mul_f32_dpp v135, v249, v135 quad_perm:[3,3,3,3] row_mask:0xf bank_mask:0xf// 000000009FF0: 0B0F0EFA FF00FFF9
	v_mul_f32_dpp v136, v250, v136 quad_perm:[0,0,0,0] row_mask:0xf bank_mask:0xf// 000000009FF8: 0B1110FA FF0000FA
	v_mul_f32_dpp v137, v250, v137 quad_perm:[1,1,1,1] row_mask:0xf bank_mask:0xf// 00000000A000: 0B1312FA FF0055FA
	v_mul_f32_dpp v138, v250, v138 quad_perm:[2,2,2,2] row_mask:0xf bank_mask:0xf// 00000000A008: 0B1514FA FF00AAFA
	v_mul_f32_dpp v139, v250, v139 quad_perm:[3,3,3,3] row_mask:0xf bank_mask:0xf// 00000000A010: 0B1716FA FF00FFFA
	v_mul_f32_dpp v140, v251, v140 quad_perm:[0,0,0,0] row_mask:0xf bank_mask:0xf// 00000000A018: 0B1918FA FF0000FB
	v_mul_f32_dpp v141, v251, v141 quad_perm:[1,1,1,1] row_mask:0xf bank_mask:0xf// 00000000A020: 0B1B1AFA FF0055FB
	v_mul_f32_dpp v142, v251, v142 quad_perm:[2,2,2,2] row_mask:0xf bank_mask:0xf// 00000000A028: 0B1D1CFA FF00AAFB
	v_mul_f32_dpp v143, v251, v143 quad_perm:[3,3,3,3] row_mask:0xf bank_mask:0xf// 00000000A030: 0B1F1EFA FF00FFFB
	s_cmp_le_i32 s90, s89                                      // 00000000A038: BF05595A
	s_cbranch_scc1 label_2003                                  // 00000000A03C: BF850073
	v_mov_b32_e32 v69, 0xff800000                              // 00000000A040: 7E8A02FF FF800000
	s_mov_b32 s60, s90                                         // 00000000A048: BEBC005A
	s_add_u32 s61, s89, 0xff                                   // 00000000A04C: 803DFF59 000000FF
	v_mov_b32_e32 v41, s61                                     // 00000000A054: 7E52023D
	v_lshrrev_b32_e32 v240, 4, v0                              // 00000000A058: 21E00084
	v_mul_i32_i24_e32 v240, 4, v240                            // 00000000A05C: 0DE1E084
	v_add_u32_e32 v240, s60, v240                              // 00000000A060: 69E1E03C
	v_and_b32_e32 v42, 15, v0                                  // 00000000A064: 2654008F
	v_lshrrev_b32_e32 v42, 3, v42                              // 00000000A068: 20545483
	s_mov_b32 s61, 0                                           // 00000000A06C: BEBD0080
	s_mul_i32 s60, 16, s7                                      // 00000000A070: 923C0790
	v_add_u32_e32 v42, s61, v42                                // 00000000A074: 6854543D
	v_sub_u32_e32 v240, v240, v42                              // 00000000A078: 6BE055F0
	v_add_u32_e32 v240, s60, v240                              // 00000000A07C: 69E1E03C
	v_add_u32_e32 v241, 1, v240                                // 00000000A080: 69E3E081
	v_add_u32_e32 v242, 2, v240                                // 00000000A084: 69E5E082
	v_add_u32_e32 v243, 3, v240                                // 00000000A088: 69E7E083
	v_cmp_le_u32_e64 s[40:41], v240, v41                       // 00000000A08C: D0CB0028 000253F0
	v_add_u32_e32 v240, 64, v240                               // 00000000A094: 69E1E0C0
	s_nop 0                                                    // 00000000A098: BF800000
	v_cndmask_b32_e64 v128, v69, v128, s[40:41]                // 00000000A09C: D1000080 00A30145
	v_cmp_le_u32_e64 s[40:41], v241, v41                       // 00000000A0A4: D0CB0028 000253F1
	v_add_u32_e32 v241, 64, v241                               // 00000000A0AC: 69E3E2C0
	s_nop 0                                                    // 00000000A0B0: BF800000
	v_cndmask_b32_e64 v129, v69, v129, s[40:41]                // 00000000A0B4: D1000081 00A30345
	v_cmp_le_u32_e64 s[40:41], v242, v41                       // 00000000A0BC: D0CB0028 000253F2
	v_add_u32_e32 v242, 64, v242                               // 00000000A0C4: 69E5E4C0
	s_nop 0                                                    // 00000000A0C8: BF800000
	v_cndmask_b32_e64 v130, v69, v130, s[40:41]                // 00000000A0CC: D1000082 00A30545
	v_cmp_le_u32_e64 s[40:41], v243, v41                       // 00000000A0D4: D0CB0028 000253F3
	v_add_u32_e32 v243, 64, v243                               // 00000000A0DC: 69E7E6C0
	s_nop 0                                                    // 00000000A0E0: BF800000
	v_cndmask_b32_e64 v131, v69, v131, s[40:41]                // 00000000A0E4: D1000083 00A30745
	v_cmp_le_u32_e64 s[40:41], v240, v41                       // 00000000A0EC: D0CB0028 000253F0
	v_add_u32_e32 v240, 64, v240                               // 00000000A0F4: 69E1E0C0
	s_nop 0                                                    // 00000000A0F8: BF800000
	v_cndmask_b32_e64 v132, v69, v132, s[40:41]                // 00000000A0FC: D1000084 00A30945
	v_cmp_le_u32_e64 s[40:41], v241, v41                       // 00000000A104: D0CB0028 000253F1
	v_add_u32_e32 v241, 64, v241                               // 00000000A10C: 69E3E2C0
	s_nop 0                                                    // 00000000A110: BF800000
	v_cndmask_b32_e64 v133, v69, v133, s[40:41]                // 00000000A114: D1000085 00A30B45
	v_cmp_le_u32_e64 s[40:41], v242, v41                       // 00000000A11C: D0CB0028 000253F2
	v_add_u32_e32 v242, 64, v242                               // 00000000A124: 69E5E4C0
	s_nop 0                                                    // 00000000A128: BF800000
	v_cndmask_b32_e64 v134, v69, v134, s[40:41]                // 00000000A12C: D1000086 00A30D45
	v_cmp_le_u32_e64 s[40:41], v243, v41                       // 00000000A134: D0CB0028 000253F3
	v_add_u32_e32 v243, 64, v243                               // 00000000A13C: 69E7E6C0
	s_nop 0                                                    // 00000000A140: BF800000
	v_cndmask_b32_e64 v135, v69, v135, s[40:41]                // 00000000A144: D1000087 00A30F45
	v_cmp_le_u32_e64 s[40:41], v240, v41                       // 00000000A14C: D0CB0028 000253F0
	v_add_u32_e32 v240, 64, v240                               // 00000000A154: 69E1E0C0
	s_nop 0                                                    // 00000000A158: BF800000
	v_cndmask_b32_e64 v136, v69, v136, s[40:41]                // 00000000A15C: D1000088 00A31145
	v_cmp_le_u32_e64 s[40:41], v241, v41                       // 00000000A164: D0CB0028 000253F1
	v_add_u32_e32 v241, 64, v241                               // 00000000A16C: 69E3E2C0
	s_nop 0                                                    // 00000000A170: BF800000
	v_cndmask_b32_e64 v137, v69, v137, s[40:41]                // 00000000A174: D1000089 00A31345
	v_cmp_le_u32_e64 s[40:41], v242, v41                       // 00000000A17C: D0CB0028 000253F2
	v_add_u32_e32 v242, 64, v242                               // 00000000A184: 69E5E4C0
	s_nop 0                                                    // 00000000A188: BF800000
	v_cndmask_b32_e64 v138, v69, v138, s[40:41]                // 00000000A18C: D100008A 00A31545
	v_cmp_le_u32_e64 s[40:41], v243, v41                       // 00000000A194: D0CB0028 000253F3
	v_add_u32_e32 v243, 64, v243                               // 00000000A19C: 69E7E6C0
	s_nop 0                                                    // 00000000A1A0: BF800000
	v_cndmask_b32_e64 v139, v69, v139, s[40:41]                // 00000000A1A4: D100008B 00A31745
	v_cmp_le_u32_e64 s[40:41], v240, v41                       // 00000000A1AC: D0CB0028 000253F0
	v_add_u32_e32 v240, 64, v240                               // 00000000A1B4: 69E1E0C0
	s_nop 0                                                    // 00000000A1B8: BF800000
	v_cndmask_b32_e64 v140, v69, v140, s[40:41]                // 00000000A1BC: D100008C 00A31945
	v_cmp_le_u32_e64 s[40:41], v241, v41                       // 00000000A1C4: D0CB0028 000253F1
	v_add_u32_e32 v241, 64, v241                               // 00000000A1CC: 69E3E2C0
	s_nop 0                                                    // 00000000A1D0: BF800000
	v_cndmask_b32_e64 v141, v69, v141, s[40:41]                // 00000000A1D4: D100008D 00A31B45
	v_cmp_le_u32_e64 s[40:41], v242, v41                       // 00000000A1DC: D0CB0028 000253F2
	v_add_u32_e32 v242, 64, v242                               // 00000000A1E4: 69E5E4C0
	s_nop 0                                                    // 00000000A1E8: BF800000
	v_cndmask_b32_e64 v142, v69, v142, s[40:41]                // 00000000A1EC: D100008E 00A31D45
	v_cmp_le_u32_e64 s[40:41], v243, v41                       // 00000000A1F4: D0CB0028 000253F3
	v_add_u32_e32 v243, 64, v243                               // 00000000A1FC: 69E7E6C0
	s_nop 0                                                    // 00000000A200: BF800000
	v_cndmask_b32_e64 v143, v69, v143, s[40:41]                // 00000000A204: D100008F 00A31F45

000000000000a20c <label_2003>:
	s_add_u32 s90, s91, s90                                    // 00000000A20C: 805A5A5B
	s_and_b32 s60, s72, 0xff                                   // 00000000A210: 863CFF48 000000FF
	v_mov_b32_e32 v42, s60                                     // 00000000A218: 7E54023C
	v_lshrrev_b32_e32 v240, 4, v0                              // 00000000A21C: 21E00084
	v_mul_i32_i24_e32 v240, 4, v240                            // 00000000A220: 0DE1E084
	s_mul_i32 s60, s7, 16                                      // 00000000A224: 923C9007
	v_add_u32_e32 v240, s60, v240                              // 00000000A228: 69E1E03C
	v_add_u32_e32 v241, 1, v240                                // 00000000A22C: 69E3E081
	v_add_u32_e32 v242, 2, v240                                // 00000000A230: 69E5E082
	v_add_u32_e32 v243, 3, v240                                // 00000000A234: 69E7E083
	v_mov_b32_e32 v41, 0xff800000                              // 00000000A238: 7E5202FF FF800000
	v_cmp_lt_u32_e64 s[40:41], v240, v42                       // 00000000A240: D0C90028 000255F0
	v_add_u32_e32 v240, 64, v240                               // 00000000A248: 69E1E0C0
	s_nop 0                                                    // 00000000A24C: BF800000
	v_cndmask_b32_e64 v128, v41, v128, s[40:41]                // 00000000A250: D1000080 00A30129
	v_cmp_lt_u32_e64 s[40:41], v241, v42                       // 00000000A258: D0C90028 000255F1
	v_add_u32_e32 v241, 64, v241                               // 00000000A260: 69E3E2C0
	s_nop 0                                                    // 00000000A264: BF800000
	v_cndmask_b32_e64 v129, v41, v129, s[40:41]                // 00000000A268: D1000081 00A30329
	v_cmp_lt_u32_e64 s[40:41], v242, v42                       // 00000000A270: D0C90028 000255F2
	v_add_u32_e32 v242, 64, v242                               // 00000000A278: 69E5E4C0
	s_nop 0                                                    // 00000000A27C: BF800000
	v_cndmask_b32_e64 v130, v41, v130, s[40:41]                // 00000000A280: D1000082 00A30529
	v_cmp_lt_u32_e64 s[40:41], v243, v42                       // 00000000A288: D0C90028 000255F3
	v_add_u32_e32 v243, 64, v243                               // 00000000A290: 69E7E6C0
	s_nop 0                                                    // 00000000A294: BF800000
	v_cndmask_b32_e64 v131, v41, v131, s[40:41]                // 00000000A298: D1000083 00A30729
	v_cmp_lt_u32_e64 s[40:41], v240, v42                       // 00000000A2A0: D0C90028 000255F0
	v_add_u32_e32 v240, 64, v240                               // 00000000A2A8: 69E1E0C0
	s_nop 0                                                    // 00000000A2AC: BF800000
	v_cndmask_b32_e64 v132, v41, v132, s[40:41]                // 00000000A2B0: D1000084 00A30929
	v_cmp_lt_u32_e64 s[40:41], v241, v42                       // 00000000A2B8: D0C90028 000255F1
	v_add_u32_e32 v241, 64, v241                               // 00000000A2C0: 69E3E2C0
	s_nop 0                                                    // 00000000A2C4: BF800000
	v_cndmask_b32_e64 v133, v41, v133, s[40:41]                // 00000000A2C8: D1000085 00A30B29
	v_cmp_lt_u32_e64 s[40:41], v242, v42                       // 00000000A2D0: D0C90028 000255F2
	v_add_u32_e32 v242, 64, v242                               // 00000000A2D8: 69E5E4C0
	s_nop 0                                                    // 00000000A2DC: BF800000
	v_cndmask_b32_e64 v134, v41, v134, s[40:41]                // 00000000A2E0: D1000086 00A30D29
	v_cmp_lt_u32_e64 s[40:41], v243, v42                       // 00000000A2E8: D0C90028 000255F3
	v_add_u32_e32 v243, 64, v243                               // 00000000A2F0: 69E7E6C0
	s_nop 0                                                    // 00000000A2F4: BF800000
	v_cndmask_b32_e64 v135, v41, v135, s[40:41]                // 00000000A2F8: D1000087 00A30F29
	v_cmp_lt_u32_e64 s[40:41], v240, v42                       // 00000000A300: D0C90028 000255F0
	v_add_u32_e32 v240, 64, v240                               // 00000000A308: 69E1E0C0
	s_nop 0                                                    // 00000000A30C: BF800000
	v_cndmask_b32_e64 v136, v41, v136, s[40:41]                // 00000000A310: D1000088 00A31129
	v_cmp_lt_u32_e64 s[40:41], v241, v42                       // 00000000A318: D0C90028 000255F1
	v_add_u32_e32 v241, 64, v241                               // 00000000A320: 69E3E2C0
	s_nop 0                                                    // 00000000A324: BF800000
	v_cndmask_b32_e64 v137, v41, v137, s[40:41]                // 00000000A328: D1000089 00A31329
	v_cmp_lt_u32_e64 s[40:41], v242, v42                       // 00000000A330: D0C90028 000255F2
	v_add_u32_e32 v242, 64, v242                               // 00000000A338: 69E5E4C0
	s_nop 0                                                    // 00000000A33C: BF800000
	v_cndmask_b32_e64 v138, v41, v138, s[40:41]                // 00000000A340: D100008A 00A31529
	v_cmp_lt_u32_e64 s[40:41], v243, v42                       // 00000000A348: D0C90028 000255F3
	v_add_u32_e32 v243, 64, v243                               // 00000000A350: 69E7E6C0
	s_nop 0                                                    // 00000000A354: BF800000
	v_cndmask_b32_e64 v139, v41, v139, s[40:41]                // 00000000A358: D100008B 00A31729
	v_cmp_lt_u32_e64 s[40:41], v240, v42                       // 00000000A360: D0C90028 000255F0
	v_add_u32_e32 v240, 64, v240                               // 00000000A368: 69E1E0C0
	s_nop 0                                                    // 00000000A36C: BF800000
	v_cndmask_b32_e64 v140, v41, v140, s[40:41]                // 00000000A370: D100008C 00A31929
	v_cmp_lt_u32_e64 s[40:41], v241, v42                       // 00000000A378: D0C90028 000255F1
	v_add_u32_e32 v241, 64, v241                               // 00000000A380: 69E3E2C0
	s_nop 0                                                    // 00000000A384: BF800000
	v_cndmask_b32_e64 v141, v41, v141, s[40:41]                // 00000000A388: D100008D 00A31B29
	v_cmp_lt_u32_e64 s[40:41], v242, v42                       // 00000000A390: D0C90028 000255F2
	v_add_u32_e32 v242, 64, v242                               // 00000000A398: 69E5E4C0
	s_nop 0                                                    // 00000000A39C: BF800000
	v_cndmask_b32_e64 v142, v41, v142, s[40:41]                // 00000000A3A0: D100008E 00A31D29
	v_cmp_lt_u32_e64 s[40:41], v243, v42                       // 00000000A3A8: D0C90028 000255F3
	v_add_u32_e32 v243, 64, v243                               // 00000000A3B0: 69E7E6C0
	s_nop 0                                                    // 00000000A3B4: BF800000
	v_cndmask_b32_e64 v143, v41, v143, s[40:41]                // 00000000A3B8: D100008F 00A31F29
	v_mov_b32_e32 v62, v128                                    // 00000000A3C0: 7E7C0380
	v_max3_f32 v62, v128, v129, v62                            // 00000000A3C4: D1D3003E 04FB0380
	v_max3_f32 v62, v130, v131, v62                            // 00000000A3CC: D1D3003E 04FB0782
	v_max3_f32 v62, v132, v133, v62                            // 00000000A3D4: D1D3003E 04FB0B84
	v_max3_f32 v62, v134, v135, v62                            // 00000000A3DC: D1D3003E 04FB0F86
	v_max3_f32 v62, v136, v137, v62                            // 00000000A3E4: D1D3003E 04FB1388
	v_max3_f32 v62, v138, v139, v62                            // 00000000A3EC: D1D3003E 04FB178A
	v_max3_f32 v62, v140, v141, v62                            // 00000000A3F4: D1D3003E 04FB1B8C
	v_max3_f32 v62, v142, v143, v62                            // 00000000A3FC: D1D3003E 04FB1F8E
	ds_write_b32 v11, v62 offset:16896                         // 00000000A404: D81A4200 00003E0B
	v_mul_u32_u24_dpp v41, v19, v68 row_newbcast:1 row_mask:0xf bank_mask:0xf// 00000000A40C: 105288FA FF015113
	v_mul_u32_u24_dpp v42, v19, v68 row_newbcast:5 row_mask:0xf bank_mask:0xf// 00000000A414: 105488FA FF015513
	v_mul_u32_u24_dpp v43, v19, v68 row_newbcast:9 row_mask:0xf bank_mask:0xf// 00000000A41C: 105688FA FF015913
	v_mul_u32_u24_dpp v44, v19, v68 row_newbcast:13 row_mask:0xf bank_mask:0xf// 00000000A424: 105888FA FF015D13
	v_add_u32_e32 v33, v41, v7                                 // 00000000A42C: 68420F29
	v_add_u32_e32 v34, v42, v7                                 // 00000000A430: 68440F2A
	v_add_u32_e32 v35, v43, v7                                 // 00000000A434: 68460F2B
	v_add_u32_e32 v36, v44, v7                                 // 00000000A438: 68480F2C
	v_mul_f32_e32 v224, v63, v224                              // 00000000A43C: 0BC1C13F
	v_mul_f32_e32 v225, v63, v225                              // 00000000A440: 0BC3C33F
	v_mul_f32_e32 v226, v63, v226                              // 00000000A444: 0BC5C53F
	v_mul_f32_e32 v227, v63, v227                              // 00000000A448: 0BC7C73F
	v_mul_f32_e32 v228, v63, v228                              // 00000000A44C: 0BC9C93F
	v_mul_f32_e32 v229, v63, v229                              // 00000000A450: 0BCBCB3F
	v_mul_f32_e32 v230, v63, v230                              // 00000000A454: 0BCDCD3F
	v_mul_f32_e32 v231, v63, v231                              // 00000000A458: 0BCFCF3F
	s_waitcnt lgkmcnt(0)                                       // 00000000A45C: BF8CC07F
	s_barrier                                                  // 00000000A460: BF8A0000
	ds_read_b32 v80, v10 offset:16896                          // 00000000A464: D86C4200 5000000A
	ds_read_b32 v81, v10 offset:16960                          // 00000000A46C: D86C4240 5100000A
	ds_read_b32 v82, v10 offset:17024                          // 00000000A474: D86C4280 5200000A
	ds_read_b32 v83, v10 offset:17088                          // 00000000A47C: D86C42C0 5300000A
	ds_read_b32 v84, v10 offset:17152                          // 00000000A484: D86C4300 5400000A
	ds_read_b32 v85, v10 offset:17216                          // 00000000A48C: D86C4340 5500000A
	ds_read_b32 v86, v10 offset:17280                          // 00000000A494: D86C4380 5600000A
	ds_read_b32 v87, v10 offset:17344                          // 00000000A49C: D86C43C0 5700000A
	ds_read_b32 v88, v10 offset:17408                          // 00000000A4A4: D86C4400 5800000A
	ds_read_b32 v89, v10 offset:17472                          // 00000000A4AC: D86C4440 5900000A
	ds_read_b32 v90, v10 offset:17536                          // 00000000A4B4: D86C4480 5A00000A
	ds_read_b32 v91, v10 offset:17600                          // 00000000A4BC: D86C44C0 5B00000A
	ds_read_b32 v92, v10 offset:17664                          // 00000000A4C4: D86C4500 5C00000A
	ds_read_b32 v93, v10 offset:17728                          // 00000000A4CC: D86C4540 5D00000A
	ds_read_b32 v94, v10 offset:17792                          // 00000000A4D4: D86C4580 5E00000A
	ds_read_b32 v95, v10 offset:17856                          // 00000000A4DC: D86C45C0 5F00000A
	v_cvt_f32_i32_e32 v192, v192                               // 00000000A4E4: 7F800BC0
	v_cvt_f32_i32_e32 v193, v193                               // 00000000A4E8: 7F820BC1
	v_cvt_f32_i32_e32 v194, v194                               // 00000000A4EC: 7F840BC2
	v_cvt_f32_i32_e32 v195, v195                               // 00000000A4F0: 7F860BC3
	v_cvt_f32_i32_e32 v196, v196                               // 00000000A4F4: 7F880BC4
	v_cvt_f32_i32_e32 v197, v197                               // 00000000A4F8: 7F8A0BC5
	v_cvt_f32_i32_e32 v198, v198                               // 00000000A4FC: 7F8C0BC6
	v_cvt_f32_i32_e32 v199, v199                               // 00000000A500: 7F8E0BC7
	v_mul_f32_e32 v192, v58, v192                              // 00000000A504: 0B81813A
	v_mul_f32_e32 v193, v58, v193                              // 00000000A508: 0B83833A
	v_mul_f32_e32 v194, v58, v194                              // 00000000A50C: 0B85853A
	v_mul_f32_e32 v195, v58, v195                              // 00000000A510: 0B87873A
	v_mul_f32_e32 v196, v58, v196                              // 00000000A514: 0B89893A
	v_mul_f32_e32 v197, v58, v197                              // 00000000A518: 0B8B8B3A
	v_mul_f32_e32 v198, v58, v198                              // 00000000A51C: 0B8D8D3A
	v_mul_f32_e32 v199, v58, v199                              // 00000000A520: 0B8F8F3A
	s_waitcnt lgkmcnt(0)                                       // 00000000A524: BF8CC07F
	v_max3_f32 v62, v80, v81, v62                              // 00000000A528: D1D3003E 04FAA350
	v_max3_f32 v62, v82, v83, v62                              // 00000000A530: D1D3003E 04FAA752
	v_max3_f32 v62, v84, v85, v62                              // 00000000A538: D1D3003E 04FAAB54
	v_max3_f32 v62, v86, v87, v62                              // 00000000A540: D1D3003E 04FAAF56
	v_max3_f32 v62, v88, v89, v62                              // 00000000A548: D1D3003E 04FAB358
	v_max3_f32 v62, v90, v91, v62                              // 00000000A550: D1D3003E 04FAB75A
	v_max3_f32 v62, v92, v93, v62                              // 00000000A558: D1D3003E 04FABB5C
	v_max3_f32 v62, v94, v95, v62                              // 00000000A560: D1D3003E 04FABF5E
	v_mov_b32_e32 v41, 0xff800000                              // 00000000A568: 7E5202FF FF800000
	v_cmp_eq_u32_e64 s[40:41], v41, v14                        // 00000000A570: D0CA0028 00021D29
	s_nop 1                                                    // 00000000A578: BF800001
	v_max_f32_e32 v18, v62, v14                                // 00000000A57C: 16241D3E
	v_mul_f32_e32 v67, s64, v18                                // 00000000A580: 0A862440
	v_fma_f32 v128, v128, s64, -v67                            // 00000000A584: D1CB0080 850C8180
	v_fma_f32 v129, v129, s64, -v67                            // 00000000A58C: D1CB0081 850C8181
	v_fma_f32 v130, v130, s64, -v67                            // 00000000A594: D1CB0082 850C8182
	v_fma_f32 v131, v131, s64, -v67                            // 00000000A59C: D1CB0083 850C8183
	v_fma_f32 v132, v132, s64, -v67                            // 00000000A5A4: D1CB0084 850C8184
	v_fma_f32 v133, v133, s64, -v67                            // 00000000A5AC: D1CB0085 850C8185
	v_fma_f32 v134, v134, s64, -v67                            // 00000000A5B4: D1CB0086 850C8186
	v_fma_f32 v135, v135, s64, -v67                            // 00000000A5BC: D1CB0087 850C8187
	v_fma_f32 v136, v136, s64, -v67                            // 00000000A5C4: D1CB0088 850C8188
	v_fma_f32 v137, v137, s64, -v67                            // 00000000A5CC: D1CB0089 850C8189
	v_fma_f32 v138, v138, s64, -v67                            // 00000000A5D4: D1CB008A 850C818A
	v_fma_f32 v139, v139, s64, -v67                            // 00000000A5DC: D1CB008B 850C818B
	v_fma_f32 v140, v140, s64, -v67                            // 00000000A5E4: D1CB008C 850C818C
	v_fma_f32 v141, v141, s64, -v67                            // 00000000A5EC: D1CB008D 850C818D
	v_fma_f32 v142, v142, s64, -v67                            // 00000000A5F4: D1CB008E 850C818E
	v_fma_f32 v143, v143, s64, -v67                            // 00000000A5FC: D1CB008F 850C818F
	v_exp_f32_e32 v128, v128                                   // 00000000A604: 7F004180
	v_exp_f32_e32 v129, v129                                   // 00000000A608: 7F024181
	v_exp_f32_e32 v130, v130                                   // 00000000A60C: 7F044182
	v_exp_f32_e32 v131, v131                                   // 00000000A610: 7F064183
	v_exp_f32_e32 v132, v132                                   // 00000000A614: 7F084184
	v_exp_f32_e32 v133, v133                                   // 00000000A618: 7F0A4185
	v_exp_f32_e32 v134, v134                                   // 00000000A61C: 7F0C4186
	v_exp_f32_e32 v135, v135                                   // 00000000A620: 7F0E4187
	v_exp_f32_e32 v136, v136                                   // 00000000A624: 7F104188
	v_exp_f32_e32 v137, v137                                   // 00000000A628: 7F124189
	v_exp_f32_e32 v138, v138                                   // 00000000A62C: 7F14418A
	v_exp_f32_e32 v139, v139                                   // 00000000A630: 7F16418B
	v_exp_f32_e32 v140, v140                                   // 00000000A634: 7F18418C
	v_exp_f32_e32 v141, v141                                   // 00000000A638: 7F1A418D
	v_exp_f32_e32 v142, v142                                   // 00000000A63C: 7F1C418E
	v_exp_f32_e32 v143, v143                                   // 00000000A640: 7F1E418F
	v_mul_f32_dpp v240, v252, v128 quad_perm:[0,0,0,0] row_mask:0xf bank_mask:0xf// 00000000A644: 0BE100FA FF0000FC
	v_mul_f32_dpp v241, v252, v129 quad_perm:[1,1,1,1] row_mask:0xf bank_mask:0xf// 00000000A64C: 0BE302FA FF0055FC
	v_mul_f32_dpp v242, v252, v130 quad_perm:[2,2,2,2] row_mask:0xf bank_mask:0xf// 00000000A654: 0BE504FA FF00AAFC
	v_mul_f32_dpp v243, v252, v131 quad_perm:[3,3,3,3] row_mask:0xf bank_mask:0xf// 00000000A65C: 0BE706FA FF00FFFC
	v_mul_f32_dpp v244, v253, v132 quad_perm:[0,0,0,0] row_mask:0xf bank_mask:0xf// 00000000A664: 0BE908FA FF0000FD
	v_mul_f32_dpp v245, v253, v133 quad_perm:[1,1,1,1] row_mask:0xf bank_mask:0xf// 00000000A66C: 0BEB0AFA FF0055FD
	v_mul_f32_dpp v246, v253, v134 quad_perm:[2,2,2,2] row_mask:0xf bank_mask:0xf// 00000000A674: 0BED0CFA FF00AAFD
	v_mul_f32_dpp v247, v253, v135 quad_perm:[3,3,3,3] row_mask:0xf bank_mask:0xf// 00000000A67C: 0BEF0EFA FF00FFFD
	v_mul_f32_dpp v248, v254, v136 quad_perm:[0,0,0,0] row_mask:0xf bank_mask:0xf// 00000000A684: 0BF110FA FF0000FE
	v_mul_f32_dpp v249, v254, v137 quad_perm:[1,1,1,1] row_mask:0xf bank_mask:0xf// 00000000A68C: 0BF312FA FF0055FE
	v_mul_f32_dpp v250, v254, v138 quad_perm:[2,2,2,2] row_mask:0xf bank_mask:0xf// 00000000A694: 0BF514FA FF00AAFE
	v_mul_f32_dpp v251, v254, v139 quad_perm:[3,3,3,3] row_mask:0xf bank_mask:0xf// 00000000A69C: 0BF716FA FF00FFFE
	v_mul_f32_dpp v252, v255, v140 quad_perm:[0,0,0,0] row_mask:0xf bank_mask:0xf// 00000000A6A4: 0BF918FA FF0000FF
	v_mul_f32_dpp v253, v255, v141 quad_perm:[1,1,1,1] row_mask:0xf bank_mask:0xf// 00000000A6AC: 0BFB1AFA FF0055FF
	v_mul_f32_dpp v254, v255, v142 quad_perm:[2,2,2,2] row_mask:0xf bank_mask:0xf// 00000000A6B4: 0BFD1CFA FF00AAFF
	v_mul_f32_dpp v255, v255, v143 quad_perm:[3,3,3,3] row_mask:0xf bank_mask:0xf// 00000000A6BC: 0BFF1EFA FF00FFFF
	v_mov_b32_e32 v62, 0x358637bd                              // 00000000A6C4: 7E7C02FF 358637BD
	v_max3_f32 v62, |v240|, |v241|, v62                        // 00000000A6CC: D1D3033E 04FBE3F0
	v_max3_f32 v62, |v242|, |v243|, v62                        // 00000000A6D4: D1D3033E 04FBE7F2
	v_max3_f32 v62, |v244|, |v245|, v62                        // 00000000A6DC: D1D3033E 04FBEBF4
	v_max3_f32 v62, |v246|, |v247|, v62                        // 00000000A6E4: D1D3033E 04FBEFF6
	v_max3_f32 v62, |v248|, |v249|, v62                        // 00000000A6EC: D1D3033E 04FBF3F8
	v_max3_f32 v62, |v250|, |v251|, v62                        // 00000000A6F4: D1D3033E 04FBF7FA
	v_max3_f32 v62, |v252|, |v253|, v62                        // 00000000A6FC: D1D3033E 04FBFBFC
	v_max3_f32 v62, |v254|, |v255|, v62                        // 00000000A704: D1D3033E 04FBFFFE
	ds_write_b32 v11, v62 offset:20992                         // 00000000A70C: D81A5200 00003E0B
	v_sub_f32_e32 v63, v14, v18                                // 00000000A714: 047E250E
	v_cndmask_b32_e64 v63, v63, 0, s[40:41]                    // 00000000A718: D100003F 00A1013F
	v_mov_b32_e32 v14, v18                                     // 00000000A720: 7E1C0312
	v_mul_f32_e32 v63, s64, v63                                // 00000000A724: 0A7E7E40
	v_exp_f32_e32 v63, v63                                     // 00000000A728: 7E7E413F
	s_waitcnt lgkmcnt(0)                                       // 00000000A72C: BF8CC07F
	s_barrier                                                  // 00000000A730: BF8A0000
	ds_read_b32 v80, v10 offset:20992                          // 00000000A734: D86C5200 5000000A
	ds_read_b32 v81, v10 offset:21056                          // 00000000A73C: D86C5240 5100000A
	ds_read_b32 v82, v10 offset:21120                          // 00000000A744: D86C5280 5200000A
	ds_read_b32 v83, v10 offset:21184                          // 00000000A74C: D86C52C0 5300000A
	ds_read_b32 v84, v10 offset:21248                          // 00000000A754: D86C5300 5400000A
	ds_read_b32 v85, v10 offset:21312                          // 00000000A75C: D86C5340 5500000A
	ds_read_b32 v86, v10 offset:21376                          // 00000000A764: D86C5380 5600000A
	ds_read_b32 v87, v10 offset:21440                          // 00000000A76C: D86C53C0 5700000A
	ds_read_b32 v88, v10 offset:21504                          // 00000000A774: D86C5400 5800000A
	ds_read_b32 v89, v10 offset:21568                          // 00000000A77C: D86C5440 5900000A
	ds_read_b32 v90, v10 offset:21632                          // 00000000A784: D86C5480 5A00000A
	ds_read_b32 v91, v10 offset:21696                          // 00000000A78C: D86C54C0 5B00000A
	ds_read_b32 v92, v10 offset:21760                          // 00000000A794: D86C5500 5C00000A
	ds_read_b32 v93, v10 offset:21824                          // 00000000A79C: D86C5540 5D00000A
	ds_read_b32 v94, v10 offset:21888                          // 00000000A7A4: D86C5580 5E00000A
	ds_read_b32 v95, v10 offset:21952                          // 00000000A7AC: D86C55C0 5F00000A
	v_mul_f32_e32 v47, v63, v47                                // 00000000A7B4: 0A5E5F3F
	v_mov_b32_e32 v18, v128                                    // 00000000A7B8: 7E240380
	v_add_f32_e32 v18, v129, v18                               // 00000000A7BC: 02242581
	v_add_f32_e32 v18, v130, v18                               // 00000000A7C0: 02242582
	v_add_f32_e32 v18, v131, v18                               // 00000000A7C4: 02242583
	v_add_f32_e32 v18, v132, v18                               // 00000000A7C8: 02242584
	v_add_f32_e32 v18, v133, v18                               // 00000000A7CC: 02242585
	v_add_f32_e32 v18, v134, v18                               // 00000000A7D0: 02242586
	v_add_f32_e32 v18, v135, v18                               // 00000000A7D4: 02242587
	v_add_f32_e32 v18, v136, v18                               // 00000000A7D8: 02242588
	v_add_f32_e32 v18, v137, v18                               // 00000000A7DC: 02242589
	v_add_f32_e32 v18, v138, v18                               // 00000000A7E0: 0224258A
	v_add_f32_e32 v18, v139, v18                               // 00000000A7E4: 0224258B
	v_add_f32_e32 v18, v140, v18                               // 00000000A7E8: 0224258C
	v_add_f32_e32 v18, v141, v18                               // 00000000A7EC: 0224258D
	v_add_f32_e32 v18, v142, v18                               // 00000000A7F0: 0224258E
	v_add_f32_e32 v18, v143, v18                               // 00000000A7F4: 0224258F
	v_add_f32_e32 v47, v18, v47                                // 00000000A7F8: 025E5F12
	s_waitcnt lgkmcnt(0)                                       // 00000000A7FC: BF8CC07F
	v_max3_f32 v62, |v80|, |v81|, v62                          // 00000000A800: D1D3033E 04FAA350
	v_max3_f32 v62, |v82|, |v83|, v62                          // 00000000A808: D1D3033E 04FAA752
	v_max3_f32 v62, |v84|, |v85|, v62                          // 00000000A810: D1D3033E 04FAAB54
	v_max3_f32 v62, |v86|, |v87|, v62                          // 00000000A818: D1D3033E 04FAAF56
	v_max3_f32 v62, |v88|, |v89|, v62                          // 00000000A820: D1D3033E 04FAB358
	v_max3_f32 v62, |v90|, |v91|, v62                          // 00000000A828: D1D3033E 04FAB75A
	v_max3_f32 v62, |v92|, |v93|, v62                          // 00000000A830: D1D3033E 04FABB5C
	v_max3_f32 v62, |v94|, |v95|, v62                          // 00000000A838: D1D3033E 04FABF5E
	s_nop 2                                                    // 00000000A840: BF800002
	v_rcp_f32_e32 v62, v62                                     // 00000000A844: 7E7C453E
	s_nop 1                                                    // 00000000A848: BF800001
	v_mul_f32_e32 v62, 0x42fe0000, v62                         // 00000000A84C: 0A7C7CFF 42FE0000
	v_mul_f32_e32 v128, v62, v240                              // 00000000A854: 0B01E13E
	v_mul_f32_e32 v129, v62, v241                              // 00000000A858: 0B03E33E
	v_mul_f32_e32 v130, v62, v242                              // 00000000A85C: 0B05E53E
	v_mul_f32_e32 v131, v62, v243                              // 00000000A860: 0B07E73E
	v_mul_f32_e32 v132, v62, v244                              // 00000000A864: 0B09E93E
	v_mul_f32_e32 v133, v62, v245                              // 00000000A868: 0B0BEB3E
	v_mul_f32_e32 v134, v62, v246                              // 00000000A86C: 0B0DED3E
	v_mul_f32_e32 v135, v62, v247                              // 00000000A870: 0B0FEF3E
	v_mul_f32_e32 v136, v62, v248                              // 00000000A874: 0B11F13E
	v_mul_f32_e32 v137, v62, v249                              // 00000000A878: 0B13F33E
	v_mul_f32_e32 v138, v62, v250                              // 00000000A87C: 0B15F53E
	v_mul_f32_e32 v139, v62, v251                              // 00000000A880: 0B17F73E
	v_mul_f32_e32 v140, v62, v252                              // 00000000A884: 0B19F93E
	v_mul_f32_e32 v141, v62, v253                              // 00000000A888: 0B1BFB3E
	v_mul_f32_e32 v142, v62, v254                              // 00000000A88C: 0B1DFD3E
	v_mul_f32_e32 v143, v62, v255                              // 00000000A890: 0B1FFF3E
	v_cvt_i32_f32_e32 v128, v128                               // 00000000A894: 7F001180
	v_cvt_i32_f32_e32 v129, v129                               // 00000000A898: 7F021181
	v_cvt_i32_f32_e32 v130, v130                               // 00000000A89C: 7F041182
	v_cvt_i32_f32_e32 v131, v131                               // 00000000A8A0: 7F061183
	v_cvt_i32_f32_e32 v132, v132                               // 00000000A8A4: 7F081184
	v_cvt_i32_f32_e32 v133, v133                               // 00000000A8A8: 7F0A1185
	v_cvt_i32_f32_e32 v134, v134                               // 00000000A8AC: 7F0C1186
	v_cvt_i32_f32_e32 v135, v135                               // 00000000A8B0: 7F0E1187
	v_cvt_i32_f32_e32 v136, v136                               // 00000000A8B4: 7F101188
	v_cvt_i32_f32_e32 v137, v137                               // 00000000A8B8: 7F121189
	v_cvt_i32_f32_e32 v138, v138                               // 00000000A8BC: 7F14118A
	v_cvt_i32_f32_e32 v139, v139                               // 00000000A8C0: 7F16118B
	v_cvt_i32_f32_e32 v140, v140                               // 00000000A8C4: 7F18118C
	v_cvt_i32_f32_e32 v141, v141                               // 00000000A8C8: 7F1A118D
	v_cvt_i32_f32_e32 v142, v142                               // 00000000A8CC: 7F1C118E
	v_cvt_i32_f32_e32 v143, v143                               // 00000000A8D0: 7F1E118F
	v_perm_b32 v128, v129, v128, s53                           // 00000000A8D4: D1ED0080 00D70181
	v_perm_b32 v128, v130, v128, s54                           // 00000000A8DC: D1ED0080 00DB0182
	v_perm_b32 v128, v131, v128, s55                           // 00000000A8E4: D1ED0080 00DF0183
	v_perm_b32 v129, v133, v132, s53                           // 00000000A8EC: D1ED0081 00D70985
	v_perm_b32 v129, v134, v129, s54                           // 00000000A8F4: D1ED0081 00DB0386
	v_perm_b32 v129, v135, v129, s55                           // 00000000A8FC: D1ED0081 00DF0387
	v_perm_b32 v130, v137, v136, s53                           // 00000000A904: D1ED0082 00D71189
	v_perm_b32 v130, v138, v130, s54                           // 00000000A90C: D1ED0082 00DB058A
	v_perm_b32 v130, v139, v130, s55                           // 00000000A914: D1ED0082 00DF058B
	v_perm_b32 v131, v141, v140, s53                           // 00000000A91C: D1ED0083 00D7198D
	v_perm_b32 v131, v142, v131, s54                           // 00000000A924: D1ED0083 00DB078E
	v_perm_b32 v131, v143, v131, s55                           // 00000000A92C: D1ED0083 00DF078F
	ds_write_b32 v13, v128 offset:25088                        // 00000000A934: D81A6200 0000800D
	ds_write_b32 v13, v129 offset:26112                        // 00000000A93C: D81A6600 0000810D
	ds_write_b32 v13, v130 offset:27136                        // 00000000A944: D81A6A00 0000820D
	ds_write_b32 v13, v131 offset:28160                        // 00000000A94C: D81A6E00 0000830D
	v_add_f32_e32 v224, v224, v192                             // 00000000A954: 03C181E0
	v_add_f32_e32 v225, v225, v193                             // 00000000A958: 03C383E1
	v_add_f32_e32 v226, v226, v194                             // 00000000A95C: 03C585E2
	v_add_f32_e32 v227, v227, v195                             // 00000000A960: 03C787E3
	v_add_f32_e32 v228, v228, v196                             // 00000000A964: 03C989E4
	v_add_f32_e32 v229, v229, v197                             // 00000000A968: 03CB8BE5
	v_add_f32_e32 v230, v230, v198                             // 00000000A96C: 03CD8DE6
	v_add_f32_e32 v231, v231, v199                             // 00000000A970: 03CF8FE7
	v_rcp_f32_e32 v58, v62                                     // 00000000A974: 7E74453E
	s_waitcnt lgkmcnt(0)                                       // 00000000A978: BF8CC07F
	s_barrier                                                  // 00000000A97C: BF8A0000
	ds_read_b64 v[128:129], v12 offset:25088                   // 00000000A980: D8EC6200 8000000C
	ds_read_b64 v[130:131], v12 offset:25216                   // 00000000A988: D8EC6280 8200000C
	ds_read_b64 v[132:133], v12 offset:26112                   // 00000000A990: D8EC6600 8400000C
	ds_read_b64 v[134:135], v12 offset:26240                   // 00000000A998: D8EC6680 8600000C
	ds_read_b64 v[136:137], v12 offset:27136                   // 00000000A9A0: D8EC6A00 8800000C
	ds_read_b64 v[138:139], v12 offset:27264                   // 00000000A9A8: D8EC6A80 8A00000C
	ds_read_b64 v[140:141], v12 offset:28160                   // 00000000A9B0: D8EC6E00 8C00000C
	ds_read_b64 v[142:143], v12 offset:28288                   // 00000000A9B8: D8EC6E80 8E00000C
	s_waitcnt vmcnt(0)                                         // 00000000A9C0: BF8C0F70
	s_barrier                                                  // 00000000A9C4: BF8A0000
	s_waitcnt lgkmcnt(7)                                       // 00000000A9C8: BF8CC77F
	v_mfma_i32_16x16x32_i8 v[192:195], a[96:97], v[128:129], 0 // 00000000A9CC: D3D700C0 0A030160
	s_waitcnt lgkmcnt(6)                                       // 00000000A9D4: BF8CC67F
	v_mfma_i32_16x16x32_i8 v[192:195], a[98:99], v[130:131], v[192:195]// 00000000A9D8: D3D700C0 0F030562
	s_waitcnt lgkmcnt(5)                                       // 00000000A9E0: BF8CC57F
	v_mfma_i32_16x16x32_i8 v[192:195], a[100:101], v[132:133], v[192:195]// 00000000A9E4: D3D700C0 0F030964
	s_waitcnt lgkmcnt(4)                                       // 00000000A9EC: BF8CC47F
	v_mfma_i32_16x16x32_i8 v[192:195], a[102:103], v[134:135], v[192:195]// 00000000A9F0: D3D700C0 0F030D66
	s_waitcnt lgkmcnt(3)                                       // 00000000A9F8: BF8CC37F
	v_mfma_i32_16x16x32_i8 v[192:195], a[104:105], v[136:137], v[192:195]// 00000000A9FC: D3D700C0 0F031168
	s_waitcnt lgkmcnt(2)                                       // 00000000AA04: BF8CC27F
	v_mfma_i32_16x16x32_i8 v[192:195], a[106:107], v[138:139], v[192:195]// 00000000AA08: D3D700C0 0F03156A
	s_waitcnt lgkmcnt(1)                                       // 00000000AA10: BF8CC17F
	v_mfma_i32_16x16x32_i8 v[192:195], a[108:109], v[140:141], v[192:195]// 00000000AA14: D3D700C0 0F03196C
	s_waitcnt lgkmcnt(0)                                       // 00000000AA1C: BF8CC07F
	v_mfma_i32_16x16x32_i8 v[192:195], a[110:111], v[142:143], v[192:195]// 00000000AA20: D3D700C0 0F031D6E
	v_mfma_i32_16x16x32_i8 v[196:199], a[112:113], v[128:129], 0// 00000000AA28: D3D700C4 0A030170
	v_mfma_i32_16x16x32_i8 v[196:199], a[114:115], v[130:131], v[196:199]// 00000000AA30: D3D700C4 0F130572
	v_mfma_i32_16x16x32_i8 v[196:199], a[116:117], v[132:133], v[196:199]// 00000000AA38: D3D700C4 0F130974
	v_mfma_i32_16x16x32_i8 v[196:199], a[118:119], v[134:135], v[196:199]// 00000000AA40: D3D700C4 0F130D76
	v_mfma_i32_16x16x32_i8 v[196:199], a[120:121], v[136:137], v[196:199]// 00000000AA48: D3D700C4 0F131178
	v_mfma_i32_16x16x32_i8 v[196:199], a[122:123], v[138:139], v[196:199]// 00000000AA50: D3D700C4 0F13157A
	v_mfma_i32_16x16x32_i8 v[196:199], a[124:125], v[140:141], v[196:199]// 00000000AA58: D3D700C4 0F13197C
	v_mfma_i32_16x16x32_i8 v[196:199], a[126:127], v[142:143], v[196:199]// 00000000AA60: D3D700C4 0F131D7E
	s_nop 4                                                    // 00000000AA68: BF800004
	s_branch label_221C                                        // 00000000AA6C: BF820000

000000000000aa70 <label_221C>:
	v_mul_f32_e32 v224, v63, v224                              // 00000000AA70: 0BC1C13F
	v_mul_f32_e32 v225, v63, v225                              // 00000000AA74: 0BC3C33F
	v_mul_f32_e32 v226, v63, v226                              // 00000000AA78: 0BC5C53F
	v_mul_f32_e32 v227, v63, v227                              // 00000000AA7C: 0BC7C73F
	v_mul_f32_e32 v228, v63, v228                              // 00000000AA80: 0BC9C93F
	v_mul_f32_e32 v229, v63, v229                              // 00000000AA84: 0BCBCB3F
	v_mul_f32_e32 v230, v63, v230                              // 00000000AA88: 0BCDCD3F
	v_mul_f32_e32 v231, v63, v231                              // 00000000AA8C: 0BCFCF3F
	v_cvt_f32_i32_e32 v192, v192                               // 00000000AA90: 7F800BC0
	v_cvt_f32_i32_e32 v193, v193                               // 00000000AA94: 7F820BC1
	v_cvt_f32_i32_e32 v194, v194                               // 00000000AA98: 7F840BC2
	v_cvt_f32_i32_e32 v195, v195                               // 00000000AA9C: 7F860BC3
	v_cvt_f32_i32_e32 v196, v196                               // 00000000AAA0: 7F880BC4
	v_cvt_f32_i32_e32 v197, v197                               // 00000000AAA4: 7F8A0BC5
	v_cvt_f32_i32_e32 v198, v198                               // 00000000AAA8: 7F8C0BC6
	v_cvt_f32_i32_e32 v199, v199                               // 00000000AAAC: 7F8E0BC7
	v_mul_f32_e32 v192, v58, v192                              // 00000000AAB0: 0B81813A
	v_mul_f32_e32 v193, v58, v193                              // 00000000AAB4: 0B83833A
	v_mul_f32_e32 v194, v58, v194                              // 00000000AAB8: 0B85853A
	v_mul_f32_e32 v195, v58, v195                              // 00000000AABC: 0B87873A
	v_mul_f32_e32 v196, v58, v196                              // 00000000AAC0: 0B89893A
	v_mul_f32_e32 v197, v58, v197                              // 00000000AAC4: 0B8B8B3A
	v_mul_f32_e32 v198, v58, v198                              // 00000000AAC8: 0B8D8D3A
	v_mul_f32_e32 v199, v58, v199                              // 00000000AACC: 0B8F8F3A
	v_add_f32_e32 v224, v224, v192                             // 00000000AAD0: 03C181E0
	v_add_f32_e32 v225, v225, v193                             // 00000000AAD4: 03C383E1
	v_add_f32_e32 v226, v226, v194                             // 00000000AAD8: 03C585E2
	v_add_f32_e32 v227, v227, v195                             // 00000000AADC: 03C787E3
	v_add_f32_e32 v228, v228, v196                             // 00000000AAE0: 03C989E4
	v_add_f32_e32 v229, v229, v197                             // 00000000AAE4: 03CB8BE5
	v_add_f32_e32 v230, v230, v198                             // 00000000AAE8: 03CD8DE6
	v_add_f32_e32 v231, v231, v199                             // 00000000AAEC: 03CF8FE7
	ds_write_b32 v11, v47 offset:16896                         // 00000000AAF0: D81A4200 00002F0B
	s_waitcnt lgkmcnt(0)                                       // 00000000AAF8: BF8CC07F
	s_barrier                                                  // 00000000AAFC: BF8A0000
	ds_read_b32 v80, v10 offset:16896                          // 00000000AB00: D86C4200 5000000A
	ds_read_b32 v81, v10 offset:16960                          // 00000000AB08: D86C4240 5100000A
	ds_read_b32 v82, v10 offset:17024                          // 00000000AB10: D86C4280 5200000A
	ds_read_b32 v83, v10 offset:17088                          // 00000000AB18: D86C42C0 5300000A
	ds_read_b32 v84, v10 offset:17152                          // 00000000AB20: D86C4300 5400000A
	ds_read_b32 v85, v10 offset:17216                          // 00000000AB28: D86C4340 5500000A
	ds_read_b32 v86, v10 offset:17280                          // 00000000AB30: D86C4380 5600000A
	ds_read_b32 v87, v10 offset:17344                          // 00000000AB38: D86C43C0 5700000A
	ds_read_b32 v88, v10 offset:17408                          // 00000000AB40: D86C4400 5800000A
	ds_read_b32 v89, v10 offset:17472                          // 00000000AB48: D86C4440 5900000A
	ds_read_b32 v90, v10 offset:17536                          // 00000000AB50: D86C4480 5A00000A
	ds_read_b32 v91, v10 offset:17600                          // 00000000AB58: D86C44C0 5B00000A
	ds_read_b32 v92, v10 offset:17664                          // 00000000AB60: D86C4500 5C00000A
	ds_read_b32 v93, v10 offset:17728                          // 00000000AB68: D86C4540 5D00000A
	ds_read_b32 v94, v10 offset:17792                          // 00000000AB70: D86C4580 5E00000A
	ds_read_b32 v95, v10 offset:17856                          // 00000000AB78: D86C45C0 5F00000A
	s_waitcnt lgkmcnt(0)                                       // 00000000AB80: BF8CC07F
	v_mov_b32_e32 v47, 0                                       // 00000000AB84: 7E5E0280
	v_add_f32_e32 v47, v80, v47                                // 00000000AB88: 025E5F50
	v_add_f32_e32 v47, v81, v47                                // 00000000AB8C: 025E5F51
	v_add_f32_e32 v47, v82, v47                                // 00000000AB90: 025E5F52
	v_add_f32_e32 v47, v83, v47                                // 00000000AB94: 025E5F53
	v_add_f32_e32 v47, v84, v47                                // 00000000AB98: 025E5F54
	v_add_f32_e32 v47, v85, v47                                // 00000000AB9C: 025E5F55
	v_add_f32_e32 v47, v86, v47                                // 00000000ABA0: 025E5F56
	v_add_f32_e32 v47, v87, v47                                // 00000000ABA4: 025E5F57
	v_add_f32_e32 v47, v88, v47                                // 00000000ABA8: 025E5F58
	v_add_f32_e32 v47, v89, v47                                // 00000000ABAC: 025E5F59
	v_add_f32_e32 v47, v90, v47                                // 00000000ABB0: 025E5F5A
	v_add_f32_e32 v47, v91, v47                                // 00000000ABB4: 025E5F5B
	v_add_f32_e32 v47, v92, v47                                // 00000000ABB8: 025E5F5C
	v_add_f32_e32 v47, v93, v47                                // 00000000ABBC: 025E5F5D
	v_add_f32_e32 v47, v94, v47                                // 00000000ABC0: 025E5F5E
	v_add_f32_e32 v47, v95, v47                                // 00000000ABC4: 025E5F5F
	s_nop 1                                                    // 00000000ABC8: BF800001
	v_rcp_f32_e32 v47, v47                                     // 00000000ABCC: 7E5E452F
	s_nop 1                                                    // 00000000ABD0: BF800001
	v_mul_f32_e32 v224, v47, v224                              // 00000000ABD4: 0BC1C12F
	v_mul_f32_e32 v225, v47, v225                              // 00000000ABD8: 0BC3C32F
	v_mul_f32_e32 v226, v47, v226                              // 00000000ABDC: 0BC5C52F
	v_mul_f32_e32 v227, v47, v227                              // 00000000ABE0: 0BC7C72F
	v_mul_f32_e32 v228, v47, v228                              // 00000000ABE4: 0BC9C92F
	v_mul_f32_e32 v229, v47, v229                              // 00000000ABE8: 0BCBCB2F
	v_mul_f32_e32 v230, v47, v230                              // 00000000ABEC: 0BCDCD2F
	v_mul_f32_e32 v231, v47, v231                              // 00000000ABF0: 0BCFCF2F
	v_cvt_pkrtz_f16_f32 v41, v224, v225                        // 00000000ABF4: D2960029 0003C3E0
	v_mov_b32_e32 v224, v41                                    // 00000000ABFC: 7FC00329
	v_cvt_pkrtz_f16_f32 v41, v226, v227                        // 00000000AC00: D2960029 0003C7E2
	v_mov_b32_e32 v225, v41                                    // 00000000AC08: 7FC20329
	v_cvt_pkrtz_f16_f32 v41, v228, v229                        // 00000000AC0C: D2960029 0003CBE4
	v_mov_b32_e32 v226, v41                                    // 00000000AC14: 7FC40329
	v_cvt_pkrtz_f16_f32 v41, v230, v231                        // 00000000AC18: D2960029 0003CFE6
	v_mov_b32_e32 v227, v41                                    // 00000000AC20: 7FC60329
	s_nop 1                                                    // 00000000AC24: BF800001
	v_lshrrev_b32_e32 v41, 4, v0                               // 00000000AC28: 20520084
	v_mul_i32_i24_e32 v45, 34, v41                             // 00000000AC2C: 0C5A52A2
	v_and_b32_e32 v41, 15, v0                                  // 00000000AC30: 2652008F
	v_mul_i32_i24_e32 v42, 2, v41                              // 00000000AC34: 0C545282
	v_add_u32_e32 v45, v42, v45                                // 00000000AC38: 685A5B2A
	s_mul_i32 s60, s7, 0x88                                    // 00000000AC3C: 923CFF07 00000088
	v_add_u32_e32 v45, s60, v45                                // 00000000AC44: 685A5A3C
	v_lshlrev_b32_e32 v45, 2, v45                              // 00000000AC48: 245A5A82
	ds_write_b64 v45, v[224:225] offset:41472                  // 00000000AC4C: D89AA200 0000E02D
	ds_write_b64 v45, v[226:227] offset:43648                  // 00000000AC54: D89AAA80 0000E22D
	v_lshrrev_b32_e32 v41, 1, v0                               // 00000000AC5C: 20520081
	v_mul_i32_i24_e32 v45, 34, v41                             // 00000000AC60: 0C5A52A2
	v_and_b32_e32 v42, 1, v0                                   // 00000000AC64: 26540081
	v_add_u32_e32 v45, v42, v45                                // 00000000AC68: 685A5B2A
	s_mul_i32 s60, s7, 2                                       // 00000000AC6C: 923C8207
	v_add_u32_e32 v45, s60, v45                                // 00000000AC70: 685A5A3C
	v_lshlrev_b32_e32 v45, 2, v45                              // 00000000AC74: 245A5A82
	s_waitcnt lgkmcnt(0)                                       // 00000000AC78: BF8CC07F
	s_barrier                                                  // 00000000AC7C: BF8A0000
	ds_read_b32 v224, v45 offset:41472                         // 00000000AC80: D86CA200 E000002D
	ds_read_b32 v225, v45 offset:41504                         // 00000000AC88: D86CA220 E100002D
	ds_read_b32 v226, v45 offset:41536                         // 00000000AC90: D86CA240 E200002D
	ds_read_b32 v227, v45 offset:41568                         // 00000000AC98: D86CA260 E300002D
	s_mul_i32 s60, s7, 0x100                                   // 00000000ACA0: 923CFF07 00000100
	v_lshlrev_b32_e32 v41, 2, v0                               // 00000000ACA8: 24520082
	v_add_u32_e64 v41, v41, s60                                // 00000000ACAC: D1340029 00007929
	s_waitcnt lgkmcnt(0)                                       // 00000000ACB4: BF8CC07F
	buffer_store_dword v224, v41, s[8:11], 0 offen             // 00000000ACB8: E0701000 8002E029
	buffer_store_dword v225, v41, s[8:11], 0 offen offset:1024 // 00000000ACC0: E0701400 8002E129
	s_add_u32 s8, s75, s8                                      // 00000000ACC8: 8008084B
	s_addc_u32 s9, 0, s9                                       // 00000000ACCC: 82090980
	buffer_store_dword v226, v41, s[8:11], 0 offen             // 00000000ACD0: E0701000 8002E229
	buffer_store_dword v227, v41, s[8:11], 0 offen offset:1024 // 00000000ACD8: E0701400 8002E329
	s_add_u32 s8, s75, s8                                      // 00000000ACE0: 8008084B
	s_addc_u32 s9, 0, s9                                       // 00000000ACE4: 82090980
	s_branch label_49F4                                        // 00000000ACE8: BF822739

000000000000acec <label_22BB>:
	s_mov_b32 s88, 0xa0                                        // 00000000ACEC: BED800FF 000000A0

000000000000acf4 <label_22BD>:
	s_mul_i32 s60, s3, s65                                     // 00000000ACF4: 923C4103
	s_mul_i32 s60, s60, 4                                      // 00000000ACF8: 923C843C
	s_add_u32 s24, s60, s24                                    // 00000000ACFC: 8018183C
	s_addc_u32 s25, 0, s25                                     // 00000000AD00: 82191980
	s_sub_u32 s89, s72, s86                                    // 00000000AD04: 80D95648
	s_mov_b32 s90, 0xff                                        // 00000000AD08: BEDA00FF 000000FF
	s_mov_b32 s91, 0x100                                       // 00000000AD10: BEDB00FF 00000100
	s_mov_b32 s56, 64                                          // 00000000AD18: BEB800C0
	s_add_u32 s73, s72, 15                                     // 00000000AD1C: 80498F48
	s_lshr_b32 s73, s73, 4                                     // 00000000AD20: 8F498449
	s_mul_i32 s60, s73, 4                                      // 00000000AD24: 923C8449
	s_mov_b32 s26, s60                                         // 00000000AD28: BE9A003C
	v_and_b32_e32 v42, 3, v0                                   // 00000000AD2C: 26540083
	v_cmp_eq_u32_e64 s[60:61], 0, v42                          // 00000000AD30: D0CA003C 00025480
	v_and_b32_e32 v41, 12, v0                                  // 00000000AD38: 2652008C
	v_add_u32_e32 v1, s7, v41                                  // 00000000AD3C: 68025207
	v_cndmask_b32_e64 v1, 0, v1, s[60:61]                      // 00000000AD40: D1000001 00F20280
	v_and_b32_e32 v42, 3, v0                                   // 00000000AD48: 26540083
	v_cmp_eq_u32_e64 s[60:61], 1, v42                          // 00000000AD4C: D0CA003C 00025481
	v_lshrrev_b32_e32 v41, 4, v0                               // 00000000AD54: 20520084
	v_and_b32_e32 v42, 12, v0                                  // 00000000AD58: 2654008C
	v_add_u32_e32 v41, v42, v41                                // 00000000AD5C: 6852532A
	v_cndmask_b32_e64 v41, 0, v41, s[60:61]                    // 00000000AD60: D1000029 00F25280
	v_add_u32_e32 v1, v1, v41                                  // 00000000AD68: 68025301
	v_lshlrev_b32_e32 v1, 2, v1                                // 00000000AD6C: 24020282
	buffer_load_dword v19, v1, s[24:27], 0 offen               // 00000000AD70: E0501000 80061301
	v_add_u32_e32 v1, s56, v1                                  // 00000000AD78: 68020238
	buffer_load_dword v20, v1, s[24:27], 0 offen               // 00000000AD7C: E0501000 80061401
	s_cmp_le_u32 s73, 32                                       // 00000000AD84: BF0BA049
	s_cselect_b32 s56, 0, s56                                  // 00000000AD88: 85383880
	s_mul_i32 s60, s2, s67                                     // 00000000AD8C: 923C4302
	s_mul_i32 s61, s84, s74                                    // 00000000AD90: 923D4A54
	s_add_u32 s60, s60, s61                                    // 00000000AD94: 803C3D3C
	s_add_u32 s12, s60, s12                                    // 00000000AD98: 800C0C3C
	s_addc_u32 s13, 0, s13                                     // 00000000AD9C: 820D0D80
	s_mul_i32 s60, s7, 0x108                                   // 00000000ADA0: 923CFF07 00000108
	s_add_u32 m0, 0, s60                                       // 00000000ADA8: 807C3C80
	s_mul_i32 s60, s7, 0x100                                   // 00000000ADAC: 923CFF07 00000100
	v_lshlrev_b32_e32 v41, 2, v0                               // 00000000ADB4: 24520082
	v_add_u32_e64 v41, v41, s60                                // 00000000ADB8: D1340029 00007929
	v_add_u32_e32 v42, 0x400, v41                              // 00000000ADC0: 685452FF 00000400
	buffer_load_dword v41, s[12:15], 0 offen lds               // 00000000ADC8: E0511000 80030029
	s_mul_i32 s60, 4, 0x108                                    // 00000000ADD0: 923CFF84 00000108
	s_add_u32 m0, m0, s60                                      // 00000000ADD8: 807C3C7C
	buffer_load_dword v42, s[12:15], 0 offen lds               // 00000000ADDC: E0511000 8003002A
	s_mul_i32 s60, 4, 0x108                                    // 00000000ADE4: 923CFF84 00000108
	s_add_u32 m0, m0, s60                                      // 00000000ADEC: 807C3C7C
	s_add_u32 s12, s74, s12                                    // 00000000ADF0: 800C0C4A
	s_addc_u32 s13, 0, s13                                     // 00000000ADF4: 820D0D80
	buffer_load_dword v41, s[12:15], 0 offen lds               // 00000000ADF8: E0511000 80030029
	s_mul_i32 s60, 4, 0x108                                    // 00000000AE00: 923CFF84 00000108
	s_add_u32 m0, m0, s60                                      // 00000000AE08: 807C3C7C
	buffer_load_dword v42, s[12:15], 0 offen lds               // 00000000AE0C: E0511000 8003002A
	s_mul_i32 s60, 4, 0x108                                    // 00000000AE14: 923CFF84 00000108
	s_add_u32 m0, m0, s60                                      // 00000000AE1C: 807C3C7C
	s_add_u32 s12, s74, s12                                    // 00000000AE20: 800C0C4A
	s_addc_u32 s13, 0, s13                                     // 00000000AE24: 820D0D80
	buffer_load_dword v41, s[12:15], 0 offen lds               // 00000000AE28: E0511000 80030029
	s_mul_i32 s60, 4, 0x108                                    // 00000000AE30: 923CFF84 00000108
	s_add_u32 m0, m0, s60                                      // 00000000AE38: 807C3C7C
	buffer_load_dword v42, s[12:15], 0 offen lds               // 00000000AE3C: E0511000 8003002A
	s_mul_i32 s60, 4, 0x108                                    // 00000000AE44: 923CFF84 00000108
	s_add_u32 m0, m0, s60                                      // 00000000AE4C: 807C3C7C
	s_add_u32 s12, s74, s12                                    // 00000000AE50: 800C0C4A
	s_addc_u32 s13, 0, s13                                     // 00000000AE54: 820D0D80
	buffer_load_dword v41, s[12:15], 0 offen lds               // 00000000AE58: E0511000 80030029
	s_mul_i32 s60, 4, 0x108                                    // 00000000AE60: 923CFF84 00000108
	s_add_u32 m0, m0, s60                                      // 00000000AE68: 807C3C7C
	buffer_load_dword v42, s[12:15], 0 offen lds               // 00000000AE6C: E0511000 8003002A
	s_mul_i32 s60, 4, 0x108                                    // 00000000AE74: 923CFF84 00000108
	s_add_u32 m0, m0, s60                                      // 00000000AE7C: 807C3C7C
	s_add_u32 s12, s74, s12                                    // 00000000AE80: 800C0C4A
	s_addc_u32 s13, 0, s13                                     // 00000000AE84: 820D0D80
	v_lshrrev_b32_e32 v41, 4, v0                               // 00000000AE88: 20520084
	v_lshlrev_b32_e32 v41, 2, v41                              // 00000000AE8C: 24525282
	v_and_b32_e32 v42, 3, v0                                   // 00000000AE90: 26540083
	v_add_u32_e32 v41, v42, v41                                // 00000000AE94: 6852532A
	v_lshlrev_b32_e32 v74, 2, v41                              // 00000000AE98: 24945282
	v_mov_b32_e32 v75, v74                                     // 00000000AE9C: 7E96034A
	s_mul_i32 s60, s2, 64                                      // 00000000AEA0: 923CC002
	s_add_u32 s32, s60, s32                                    // 00000000AEA4: 8020203C
	s_addc_u32 s33, 0, s33                                     // 00000000AEA8: 82212180
	s_add_u32 s36, s60, s36                                    // 00000000AEAC: 8024243C
	s_addc_u32 s37, 0, s37                                     // 00000000AEB0: 82252580
	s_mul_i32 s60, s2, s76                                     // 00000000AEB4: 923C4C02
	s_mul_i32 s61, s84, s75                                    // 00000000AEB8: 923D4B54
	s_add_u32 s60, s60, s61                                    // 00000000AEBC: 803C3D3C
	s_add_u32 s8, s60, s8                                      // 00000000AEC0: 8008083C
	s_addc_u32 s9, 0, s9                                       // 00000000AEC4: 82090980
	s_mov_b32 s70, 0                                           // 00000000AEC8: BEC60080
	s_and_b32 s71, s72, 0xffffff00                             // 00000000AECC: 8647FF48 FFFFFF00
	s_mov_b32 s42, 0xff00ff00                                  // 00000000AED4: BEAA00FF FF00FF00
	s_mov_b32 s43, 0xff00ff00                                  // 00000000AEDC: BEAB00FF FF00FF00
	s_mov_b32 s44, 0xf0f0f0f0                                  // 00000000AEE4: BEAC00FF F0F0F0F0
	s_mov_b32 s45, 0xf0f0f0f0                                  // 00000000AEEC: BEAD00FF F0F0F0F0
	s_mov_b32 s78, 0xff00ff                                    // 00000000AEF4: BECE00FF 00FF00FF
	s_mov_b32 s79, 0xff00ff                                    // 00000000AEFC: BECF00FF 00FF00FF
	v_mul_i32_i24_e64 v78, 64, s66                             // 00000000AF04: D106004E 000084C0
	v_mov_b32_e32 v68, s68                                     // 00000000AF0C: 7E880244
	s_mov_b32 s52, 0x7060302                                   // 00000000AF10: BEB400FF 07060302
	s_mov_b32 s53, 0x400                                       // 00000000AF18: BEB500FF 00000400
	s_mov_b32 s54, 0x40100                                     // 00000000AF20: BEB600FF 00040100
	s_mov_b32 s55, 0x4020100                                   // 00000000AF28: BEB700FF 04020100
	s_mov_b32 s6, 0x3fb8aa3b                                   // 00000000AF30: BE8600FF 3FB8AA3B
	v_mov_b32_e32 v14, 0xff800000                              // 00000000AF38: 7E1C02FF FF800000
	v_mov_b32_e32 v15, 0xff800000                              // 00000000AF40: 7E1E02FF FF800000
	v_mov_b32_e32 v63, 0                                       // 00000000AF48: 7E7E0280
	v_mov_b32_e32 v64, 0                                       // 00000000AF4C: 7E800280
	v_mov_b32_e32 v47, 0                                       // 00000000AF50: 7E5E0280
	v_mov_b32_e32 v48, 0                                       // 00000000AF54: 7E600280
	v_mov_b32_e32 v58, 0                                       // 00000000AF58: 7E740280
	v_mov_b32_e32 v59, 0                                       // 00000000AF5C: 7E760280
	v_mov_b32_e32 v22, 0xffff0000                              // 00000000AF60: 7E2C02FF FFFF0000
	v_mov_b32_e32 v23, 0x7fff0000                              // 00000000AF68: 7E2E02FF 7FFF0000
	v_mov_b32_e32 v24, 0x7fff                                  // 00000000AF70: 7E3002FF 00007FFF
	v_add_u32_e32 v1, s56, v1                                  // 00000000AF78: 68020238
	v_and_b32_e32 v10, 15, v0                                  // 00000000AF7C: 2614008F
	v_lshlrev_b32_e32 v10, 2, v10                              // 00000000AF80: 24141482
	v_lshlrev_b32_e32 v11, 2, v0                               // 00000000AF84: 24160082
	s_mul_i32 s60, 0x100, s7                                   // 00000000AF88: 923C07FF 00000100
	v_add_u32_e32 v11, s60, v11                                // 00000000AF90: 6816163C
	v_lshrrev_b32_e32 v41, 4, v0                               // 00000000AF94: 20520084
	v_lshlrev_b32_e32 v42, 6, v41                              // 00000000AF98: 24545286
	v_and_b32_e32 v41, 15, v0                                  // 00000000AF9C: 2652008F
	v_lshlrev_b32_e32 v41, 1, v41                              // 00000000AFA0: 24525281
	v_add_u32_e32 v42, v41, v42                                // 00000000AFA4: 68545529
	v_lshlrev_b32_e32 v12, 2, v42                              // 00000000AFA8: 24185482
	v_lshrrev_b32_e32 v41, 5, v0                               // 00000000AFAC: 20520085
	v_lshlrev_b32_e32 v42, 5, v41                              // 00000000AFB0: 24545285
	v_and_b32_e32 v41, 31, v0                                  // 00000000AFB4: 2652009F
	v_lshrrev_b32_e32 v43, 4, v41                              // 00000000AFB8: 20565284
	v_add_u32_e32 v42, v43, v42                                // 00000000AFBC: 6854552B
	v_and_b32_e32 v41, 15, v0                                  // 00000000AFC0: 2652008F
	v_lshlrev_b32_e32 v41, 1, v41                              // 00000000AFC4: 24525281
	v_add_u32_e32 v42, v41, v42                                // 00000000AFC8: 68545529
	v_lshlrev_b32_e32 v41, 2, v42                              // 00000000AFCC: 24525482
	s_mul_i32 s60, 0x100, s7                                   // 00000000AFD0: 923C07FF 00000100
	v_add_u32_e64 v13, v41, s60                                // 00000000AFD8: D134000D 00007929
	v_lshlrev_b32_e32 v6, 4, v0                                // 00000000AFE0: 240C0084
	s_mul_i32 s60, s2, s69                                     // 00000000AFE4: 923C4502
	s_add_u32 s16, s60, s16                                    // 00000000AFE8: 8010103C
	s_addc_u32 s17, 0, s17                                     // 00000000AFEC: 82111180
	v_and_b32_e32 v41, 15, v0                                  // 00000000AFF0: 2652008F
	v_lshlrev_b32_e32 v7, 4, v41                               // 00000000AFF4: 240E5284
	s_mul_i32 s61, s2, s69                                     // 00000000AFF8: 923D4502
	s_mul_i32 s60, s7, 0x100                                   // 00000000AFFC: 923CFF07 00000100
	s_add_u32 s60, s60, s61                                    // 00000000B004: 803C3D3C
	s_add_u32 s20, s60, s20                                    // 00000000B008: 8014143C
	s_addc_u32 s21, 0, s21                                     // 00000000B00C: 82151580
	s_waitcnt vmcnt(4)                                         // 00000000B010: BF8C0F74
	v_mul_u32_u24_dpp v41, v19, v68 row_newbcast:0 row_mask:0xf bank_mask:0xf// 00000000B014: 105288FA FF015013
	v_mul_u32_u24_dpp v42, v19, v68 row_newbcast:4 row_mask:0xf bank_mask:0xf// 00000000B01C: 105488FA FF015413
	v_mul_u32_u24_dpp v43, v19, v68 row_newbcast:8 row_mask:0xf bank_mask:0xf// 00000000B024: 105688FA FF015813
	v_mul_u32_u24_dpp v44, v19, v68 row_newbcast:12 row_mask:0xf bank_mask:0xf// 00000000B02C: 105888FA FF015C13
	v_add_u32_e32 v25, v41, v6                                 // 00000000B034: 68320D29
	v_add_u32_e32 v26, v42, v6                                 // 00000000B038: 68340D2A
	v_add_u32_e32 v27, v43, v6                                 // 00000000B03C: 68360D2B
	v_add_u32_e32 v28, v44, v6                                 // 00000000B040: 68380D2C
	v_mul_u32_u24_dpp v41, v19, v68 row_newbcast:1 row_mask:0xf bank_mask:0xf// 00000000B044: 105288FA FF015113
	v_mul_u32_u24_dpp v42, v19, v68 row_newbcast:5 row_mask:0xf bank_mask:0xf// 00000000B04C: 105488FA FF015513
	v_mul_u32_u24_dpp v43, v19, v68 row_newbcast:9 row_mask:0xf bank_mask:0xf// 00000000B054: 105688FA FF015913
	v_mul_u32_u24_dpp v44, v19, v68 row_newbcast:13 row_mask:0xf bank_mask:0xf// 00000000B05C: 105888FA FF015D13
	v_add_u32_e32 v33, v41, v7                                 // 00000000B064: 68420F29
	v_add_u32_e32 v34, v42, v7                                 // 00000000B068: 68440F2A
	v_add_u32_e32 v35, v43, v7                                 // 00000000B06C: 68460F2B
	v_add_u32_e32 v36, v44, v7                                 // 00000000B070: 68480F2C
	v_mul_u32_u24_dpp v41, v19, v78 quad_perm:[0,0,0,0] row_mask:0xf bank_mask:0xf// 00000000B074: 10529CFA FF000013
	v_add_u32_e32 v2, v41, v74                                 // 00000000B07C: 68049529
	v_mul_u32_u24_dpp v41, v19, v78 quad_perm:[0,0,0,0] row_mask:0xf bank_mask:0xf// 00000000B080: 10529CFA FF000013
	v_add_u32_e32 v70, v41, v75                                // 00000000B088: 688C9729
	buffer_load_dword v52, v2, s[32:35], 0 offen               // 00000000B08C: E0501000 80083402
	buffer_load_dwordx4 a[0:3], v25, s[16:19], 0 offen         // 00000000B094: E05C1000 80840019
	buffer_load_dwordx4 a[4:7], v25, s[16:19], 0 offen offset:1024// 00000000B09C: E05C1400 80840419
	buffer_load_dwordx4 a[8:11], v26, s[16:19], 0 offen        // 00000000B0A4: E05C1000 8084081A
	buffer_load_dwordx4 a[12:15], v26, s[16:19], 0 offen offset:1024// 00000000B0AC: E05C1400 80840C1A
	buffer_load_dwordx4 a[16:19], v27, s[16:19], 0 offen       // 00000000B0B4: E05C1000 8084101B
	buffer_load_dwordx4 a[20:23], v27, s[16:19], 0 offen offset:1024// 00000000B0BC: E05C1400 8084141B
	buffer_load_dwordx4 a[24:27], v28, s[16:19], 0 offen       // 00000000B0C4: E05C1000 8084181C
	buffer_load_dwordx4 a[28:31], v28, s[16:19], 0 offen offset:1024// 00000000B0CC: E05C1400 80841C1C
	buffer_load_dword v72, v70, s[36:39], 0 offen              // 00000000B0D4: E0501000 80094846
	buffer_load_dwordx4 a[64:67], v33, s[20:23], 0 offen       // 00000000B0DC: E05C1000 80854021
	buffer_load_dwordx4 a[68:71], v34, s[20:23], 0 offen       // 00000000B0E4: E05C1000 80854422
	buffer_load_dwordx4 a[72:75], v35, s[20:23], 0 offen       // 00000000B0EC: E05C1000 80854823
	buffer_load_dwordx4 a[76:79], v36, s[20:23], 0 offen       // 00000000B0F4: E05C1000 80854C24
	buffer_load_dwordx4 a[80:83], v33, s[20:23], 0 offen offset:1024// 00000000B0FC: E05C1400 80855021
	buffer_load_dwordx4 a[84:87], v34, s[20:23], 0 offen offset:1024// 00000000B104: E05C1400 80855422
	buffer_load_dwordx4 a[88:91], v35, s[20:23], 0 offen offset:1024// 00000000B10C: E05C1400 80855823
	buffer_load_dwordx4 a[92:95], v36, s[20:23], 0 offen offset:1024// 00000000B114: E05C1400 80855C24
	v_lshrrev_b32_e32 v41, 4, v0                               // 00000000B11C: 20520084
	v_lshlrev_b32_e32 v42, 1, v41                              // 00000000B120: 24545281
	v_and_b32_e32 v41, 15, v0                                  // 00000000B124: 2652008F
	v_mul_i32_i24_e32 v41, 0x42, v41                           // 00000000B128: 0C5252FF 00000042
	v_add_u32_e32 v42, v41, v42                                // 00000000B130: 68545529
	v_lshlrev_b32_e32 v4, 2, v42                               // 00000000B134: 24085482
	s_mul_i32 s60, s7, 32                                      // 00000000B138: 923CA007
	v_add_u32_e32 v4, s60, v4                                  // 00000000B13C: 6808083C
	s_waitcnt vmcnt(16) lgkmcnt(0)                             // 00000000B140: BF8C4070
	s_barrier                                                  // 00000000B144: BF8A0000
	ds_read_b64 v[96:97], v4                                   // 00000000B148: D8EC0000 60000004
	ds_read_b64 v[100:101], v4 offset:128                      // 00000000B150: D8EC0080 64000004
	s_waitcnt lgkmcnt(0)                                       // 00000000B158: BF8CC07F
	v_and_b32_e32 v41, 0xffff, v96                             // 00000000B15C: 2652C0FF 0000FFFF
	v_lshrrev_b32_e32 v42, 16, v96                             // 00000000B164: 2054C090
	v_and_b32_e32 v43, 0xffff, v97                             // 00000000B168: 2656C2FF 0000FFFF
	v_lshrrev_b32_e32 v44, 16, v97                             // 00000000B170: 2058C290
	v_cvt_f32_f16_e32 v96, v41                                 // 00000000B174: 7EC01729
	v_cvt_f32_f16_e32 v97, v42                                 // 00000000B178: 7EC2172A
	v_cvt_f32_f16_e32 v98, v43                                 // 00000000B17C: 7EC4172B
	v_cvt_f32_f16_e32 v99, v44                                 // 00000000B180: 7EC6172C
	v_and_b32_e32 v41, 0xffff, v100                            // 00000000B184: 2652C8FF 0000FFFF
	v_lshrrev_b32_e32 v42, 16, v100                            // 00000000B18C: 2054C890
	v_and_b32_e32 v43, 0xffff, v101                            // 00000000B190: 2656CAFF 0000FFFF
	v_lshrrev_b32_e32 v44, 16, v101                            // 00000000B198: 2058CA90
	v_cvt_f32_f16_e32 v100, v41                                // 00000000B19C: 7EC81729
	v_cvt_f32_f16_e32 v101, v42                                // 00000000B1A0: 7ECA172A
	v_cvt_f32_f16_e32 v102, v43                                // 00000000B1A4: 7ECC172B
	v_cvt_f32_f16_e32 v103, v44                                // 00000000B1A8: 7ECE172C
	v_mov_b32_e32 v62, 0x358637bd                              // 00000000B1AC: 7E7C02FF 358637BD
	v_max3_f32 v62, |v96|, |v97|, v62                          // 00000000B1B4: D1D3033E 04FAC360
	v_max3_f32 v62, |v98|, |v99|, v62                          // 00000000B1BC: D1D3033E 04FAC762
	v_max3_f32 v62, |v100|, |v101|, v62                        // 00000000B1C4: D1D3033E 04FACB64
	v_max3_f32 v62, |v102|, |v103|, v62                        // 00000000B1CC: D1D3033E 04FACF66
	ds_write_b32 v11, v62 offset:16896                         // 00000000B1D4: D81A4200 00003E0B
	s_waitcnt lgkmcnt(0)                                       // 00000000B1DC: BF8CC07F
	s_barrier                                                  // 00000000B1E0: BF8A0000
	ds_read_b32 v80, v10 offset:16896                          // 00000000B1E4: D86C4200 5000000A
	ds_read_b32 v81, v10 offset:16960                          // 00000000B1EC: D86C4240 5100000A
	ds_read_b32 v82, v10 offset:17024                          // 00000000B1F4: D86C4280 5200000A
	ds_read_b32 v83, v10 offset:17088                          // 00000000B1FC: D86C42C0 5300000A
	ds_read_b32 v84, v10 offset:17152                          // 00000000B204: D86C4300 5400000A
	ds_read_b32 v85, v10 offset:17216                          // 00000000B20C: D86C4340 5500000A
	ds_read_b32 v86, v10 offset:17280                          // 00000000B214: D86C4380 5600000A
	ds_read_b32 v87, v10 offset:17344                          // 00000000B21C: D86C43C0 5700000A
	ds_read_b32 v88, v10 offset:17408                          // 00000000B224: D86C4400 5800000A
	ds_read_b32 v89, v10 offset:17472                          // 00000000B22C: D86C4440 5900000A
	ds_read_b32 v90, v10 offset:17536                          // 00000000B234: D86C4480 5A00000A
	ds_read_b32 v91, v10 offset:17600                          // 00000000B23C: D86C44C0 5B00000A
	ds_read_b32 v92, v10 offset:17664                          // 00000000B244: D86C4500 5C00000A
	ds_read_b32 v93, v10 offset:17728                          // 00000000B24C: D86C4540 5D00000A
	ds_read_b32 v94, v10 offset:17792                          // 00000000B254: D86C4580 5E00000A
	ds_read_b32 v95, v10 offset:17856                          // 00000000B25C: D86C45C0 5F00000A
	s_waitcnt lgkmcnt(0)                                       // 00000000B264: BF8CC07F
	v_max3_f32 v62, |v80|, |v81|, v62                          // 00000000B268: D1D3033E 04FAA350
	v_max3_f32 v62, |v82|, |v83|, v62                          // 00000000B270: D1D3033E 04FAA752
	v_max3_f32 v62, |v84|, |v85|, v62                          // 00000000B278: D1D3033E 04FAAB54
	v_max3_f32 v62, |v86|, |v87|, v62                          // 00000000B280: D1D3033E 04FAAF56
	v_max3_f32 v62, |v88|, |v89|, v62                          // 00000000B288: D1D3033E 04FAB358
	v_max3_f32 v62, |v90|, |v91|, v62                          // 00000000B290: D1D3033E 04FAB75A
	v_max3_f32 v62, |v92|, |v93|, v62                          // 00000000B298: D1D3033E 04FABB5C
	v_max3_f32 v62, |v94|, |v95|, v62                          // 00000000B2A0: D1D3033E 04FABF5E
	v_rcp_f32_e32 v62, v62                                     // 00000000B2A8: 7E7C453E
	s_nop 1                                                    // 00000000B2AC: BF800001
	v_mul_f32_e32 v62, 0x42fe0000, v62                         // 00000000B2B0: 0A7C7CFF 42FE0000
	v_mul_f32_e32 v96, v62, v96                                // 00000000B2B8: 0AC0C13E
	v_mul_f32_e32 v97, v62, v97                                // 00000000B2BC: 0AC2C33E
	v_mul_f32_e32 v98, v62, v98                                // 00000000B2C0: 0AC4C53E
	v_mul_f32_e32 v99, v62, v99                                // 00000000B2C4: 0AC6C73E
	v_mul_f32_e32 v100, v62, v100                              // 00000000B2C8: 0AC8C93E
	v_mul_f32_e32 v101, v62, v101                              // 00000000B2CC: 0ACACB3E
	v_mul_f32_e32 v102, v62, v102                              // 00000000B2D0: 0ACCCD3E
	v_mul_f32_e32 v103, v62, v103                              // 00000000B2D4: 0ACECF3E
	v_cvt_i32_f32_e32 v96, v96                                 // 00000000B2D8: 7EC01160
	v_cvt_i32_f32_e32 v97, v97                                 // 00000000B2DC: 7EC21161
	v_cvt_i32_f32_e32 v98, v98                                 // 00000000B2E0: 7EC41162
	v_cvt_i32_f32_e32 v99, v99                                 // 00000000B2E4: 7EC61163
	v_cvt_i32_f32_e32 v100, v100                               // 00000000B2E8: 7EC81164
	v_cvt_i32_f32_e32 v101, v101                               // 00000000B2EC: 7ECA1165
	v_cvt_i32_f32_e32 v102, v102                               // 00000000B2F0: 7ECC1166
	v_cvt_i32_f32_e32 v103, v103                               // 00000000B2F4: 7ECE1167
	v_rcp_f32_e32 v54, v62                                     // 00000000B2F8: 7E6C453E
	v_perm_b32 v96, v97, v96, s53                              // 00000000B2FC: D1ED0060 00D6C161
	v_perm_b32 v96, v98, v96, s54                              // 00000000B304: D1ED0060 00DAC162
	v_perm_b32 v96, v99, v96, s55                              // 00000000B30C: D1ED0060 00DEC163
	v_perm_b32 v97, v101, v100, s53                            // 00000000B314: D1ED0061 00D6C965
	v_perm_b32 v97, v102, v97, s54                             // 00000000B31C: D1ED0061 00DAC366
	v_perm_b32 v97, v103, v97, s55                             // 00000000B324: D1ED0061 00DEC367
	ds_write_b32 v13, v96 offset:25088                         // 00000000B32C: D81A6200 0000600D
	ds_write_b32 v13, v97 offset:26112                         // 00000000B334: D81A6600 0000610D
	s_waitcnt lgkmcnt(0)                                       // 00000000B33C: BF8CC07F
	s_barrier                                                  // 00000000B340: BF8A0000
	ds_read_b64 v[96:97], v12 offset:25088                     // 00000000B344: D8EC6200 6000000C
	ds_read_b64 v[98:99], v12 offset:25216                     // 00000000B34C: D8EC6280 6200000C
	ds_read_b64 v[100:101], v12 offset:26112                   // 00000000B354: D8EC6600 6400000C
	ds_read_b64 v[102:103], v12 offset:26240                   // 00000000B35C: D8EC6680 6600000C
	v_mov_b32_e32 v224, 0                                      // 00000000B364: 7FC00280
	v_mov_b32_e32 v225, 0                                      // 00000000B368: 7FC20280
	v_mov_b32_e32 v226, 0                                      // 00000000B36C: 7FC40280
	v_mov_b32_e32 v227, 0                                      // 00000000B370: 7FC60280
	v_mov_b32_e32 v228, 0                                      // 00000000B374: 7FC80280
	v_mov_b32_e32 v229, 0                                      // 00000000B378: 7FCA0280
	v_mov_b32_e32 v230, 0                                      // 00000000B37C: 7FCC0280
	v_mov_b32_e32 v231, 0                                      // 00000000B380: 7FCE0280
	v_mov_b32_e32 v192, 0                                      // 00000000B384: 7F800280
	v_mov_b32_e32 v193, 0                                      // 00000000B388: 7F820280
	v_mov_b32_e32 v194, 0                                      // 00000000B38C: 7F840280
	v_mov_b32_e32 v195, 0                                      // 00000000B390: 7F860280
	v_mov_b32_e32 v196, 0                                      // 00000000B394: 7F880280
	v_mov_b32_e32 v197, 0                                      // 00000000B398: 7F8A0280
	v_mov_b32_e32 v198, 0                                      // 00000000B39C: 7F8C0280
	v_mov_b32_e32 v199, 0                                      // 00000000B3A0: 7F8E0280
	ds_read_b64 v[104:105], v4 offset:4224                     // 00000000B3A4: D8EC1080 68000004
	ds_read_b64 v[108:109], v4 offset:4352                     // 00000000B3AC: D8EC1100 6C000004
	s_waitcnt lgkmcnt(0)                                       // 00000000B3B4: BF8CC07F
	v_and_b32_e32 v41, 0xffff, v104                            // 00000000B3B8: 2652D0FF 0000FFFF
	v_lshrrev_b32_e32 v42, 16, v104                            // 00000000B3C0: 2054D090
	v_and_b32_e32 v43, 0xffff, v105                            // 00000000B3C4: 2656D2FF 0000FFFF
	v_lshrrev_b32_e32 v44, 16, v105                            // 00000000B3CC: 2058D290
	v_cvt_f32_f16_e32 v104, v41                                // 00000000B3D0: 7ED01729
	v_cvt_f32_f16_e32 v105, v42                                // 00000000B3D4: 7ED2172A
	v_cvt_f32_f16_e32 v106, v43                                // 00000000B3D8: 7ED4172B
	v_cvt_f32_f16_e32 v107, v44                                // 00000000B3DC: 7ED6172C
	v_and_b32_e32 v41, 0xffff, v108                            // 00000000B3E0: 2652D8FF 0000FFFF
	v_lshrrev_b32_e32 v42, 16, v108                            // 00000000B3E8: 2054D890
	v_and_b32_e32 v43, 0xffff, v109                            // 00000000B3EC: 2656DAFF 0000FFFF
	v_lshrrev_b32_e32 v44, 16, v109                            // 00000000B3F4: 2058DA90
	v_cvt_f32_f16_e32 v108, v41                                // 00000000B3F8: 7ED81729
	v_cvt_f32_f16_e32 v109, v42                                // 00000000B3FC: 7EDA172A
	v_cvt_f32_f16_e32 v110, v43                                // 00000000B400: 7EDC172B
	v_cvt_f32_f16_e32 v111, v44                                // 00000000B404: 7EDE172C
	v_mov_b32_e32 v62, 0x358637bd                              // 00000000B408: 7E7C02FF 358637BD
	v_max3_f32 v62, |v104|, |v105|, v62                        // 00000000B410: D1D3033E 04FAD368
	v_max3_f32 v62, |v106|, |v107|, v62                        // 00000000B418: D1D3033E 04FAD76A
	v_max3_f32 v62, |v108|, |v109|, v62                        // 00000000B420: D1D3033E 04FADB6C
	v_max3_f32 v62, |v110|, |v111|, v62                        // 00000000B428: D1D3033E 04FADF6E
	ds_write_b32 v11, v62 offset:16896                         // 00000000B430: D81A4200 00003E0B
	s_waitcnt lgkmcnt(0)                                       // 00000000B438: BF8CC07F
	s_barrier                                                  // 00000000B43C: BF8A0000
	ds_read_b32 v80, v10 offset:16896                          // 00000000B440: D86C4200 5000000A
	ds_read_b32 v81, v10 offset:16960                          // 00000000B448: D86C4240 5100000A
	ds_read_b32 v82, v10 offset:17024                          // 00000000B450: D86C4280 5200000A
	ds_read_b32 v83, v10 offset:17088                          // 00000000B458: D86C42C0 5300000A
	ds_read_b32 v84, v10 offset:17152                          // 00000000B460: D86C4300 5400000A
	ds_read_b32 v85, v10 offset:17216                          // 00000000B468: D86C4340 5500000A
	ds_read_b32 v86, v10 offset:17280                          // 00000000B470: D86C4380 5600000A
	ds_read_b32 v87, v10 offset:17344                          // 00000000B478: D86C43C0 5700000A
	ds_read_b32 v88, v10 offset:17408                          // 00000000B480: D86C4400 5800000A
	ds_read_b32 v89, v10 offset:17472                          // 00000000B488: D86C4440 5900000A
	ds_read_b32 v90, v10 offset:17536                          // 00000000B490: D86C4480 5A00000A
	ds_read_b32 v91, v10 offset:17600                          // 00000000B498: D86C44C0 5B00000A
	ds_read_b32 v92, v10 offset:17664                          // 00000000B4A0: D86C4500 5C00000A
	ds_read_b32 v93, v10 offset:17728                          // 00000000B4A8: D86C4540 5D00000A
	ds_read_b32 v94, v10 offset:17792                          // 00000000B4B0: D86C4580 5E00000A
	ds_read_b32 v95, v10 offset:17856                          // 00000000B4B8: D86C45C0 5F00000A
	s_waitcnt lgkmcnt(0)                                       // 00000000B4C0: BF8CC07F
	v_max3_f32 v62, |v80|, |v81|, v62                          // 00000000B4C4: D1D3033E 04FAA350
	v_max3_f32 v62, |v82|, |v83|, v62                          // 00000000B4CC: D1D3033E 04FAA752
	v_max3_f32 v62, |v84|, |v85|, v62                          // 00000000B4D4: D1D3033E 04FAAB54
	v_max3_f32 v62, |v86|, |v87|, v62                          // 00000000B4DC: D1D3033E 04FAAF56
	v_max3_f32 v62, |v88|, |v89|, v62                          // 00000000B4E4: D1D3033E 04FAB358
	v_max3_f32 v62, |v90|, |v91|, v62                          // 00000000B4EC: D1D3033E 04FAB75A
	v_max3_f32 v62, |v92|, |v93|, v62                          // 00000000B4F4: D1D3033E 04FABB5C
	v_max3_f32 v62, |v94|, |v95|, v62                          // 00000000B4FC: D1D3033E 04FABF5E
	v_rcp_f32_e32 v62, v62                                     // 00000000B504: 7E7C453E
	s_nop 1                                                    // 00000000B508: BF800001
	v_mul_f32_e32 v62, 0x42fe0000, v62                         // 00000000B50C: 0A7C7CFF 42FE0000
	v_mul_f32_e32 v104, v62, v104                              // 00000000B514: 0AD0D13E
	v_mul_f32_e32 v105, v62, v105                              // 00000000B518: 0AD2D33E
	v_mul_f32_e32 v106, v62, v106                              // 00000000B51C: 0AD4D53E
	v_mul_f32_e32 v107, v62, v107                              // 00000000B520: 0AD6D73E
	v_mul_f32_e32 v108, v62, v108                              // 00000000B524: 0AD8D93E
	v_mul_f32_e32 v109, v62, v109                              // 00000000B528: 0ADADB3E
	v_mul_f32_e32 v110, v62, v110                              // 00000000B52C: 0ADCDD3E
	v_mul_f32_e32 v111, v62, v111                              // 00000000B530: 0ADEDF3E
	v_cvt_i32_f32_e32 v104, v104                               // 00000000B534: 7ED01168
	v_cvt_i32_f32_e32 v105, v105                               // 00000000B538: 7ED21169
	v_cvt_i32_f32_e32 v106, v106                               // 00000000B53C: 7ED4116A
	v_cvt_i32_f32_e32 v107, v107                               // 00000000B540: 7ED6116B
	v_cvt_i32_f32_e32 v108, v108                               // 00000000B544: 7ED8116C
	v_cvt_i32_f32_e32 v109, v109                               // 00000000B548: 7EDA116D
	v_cvt_i32_f32_e32 v110, v110                               // 00000000B54C: 7EDC116E
	v_cvt_i32_f32_e32 v111, v111                               // 00000000B550: 7EDE116F
	v_rcp_f32_e32 v55, v62                                     // 00000000B554: 7E6E453E
	v_perm_b32 v104, v105, v104, s53                           // 00000000B558: D1ED0068 00D6D169
	v_perm_b32 v104, v106, v104, s54                           // 00000000B560: D1ED0068 00DAD16A
	v_perm_b32 v104, v107, v104, s55                           // 00000000B568: D1ED0068 00DED16B
	v_perm_b32 v105, v109, v108, s53                           // 00000000B570: D1ED0069 00D6D96D
	v_perm_b32 v105, v110, v105, s54                           // 00000000B578: D1ED0069 00DAD36E
	v_perm_b32 v105, v111, v105, s55                           // 00000000B580: D1ED0069 00DED36F
	ds_write_b32 v13, v104 offset:25088                        // 00000000B588: D81A6200 0000680D
	ds_write_b32 v13, v105 offset:26112                        // 00000000B590: D81A6600 0000690D
	s_waitcnt lgkmcnt(0)                                       // 00000000B598: BF8CC07F
	s_barrier                                                  // 00000000B59C: BF8A0000
	ds_read_b64 v[104:105], v12 offset:25088                   // 00000000B5A0: D8EC6200 6800000C
	ds_read_b64 v[106:107], v12 offset:25216                   // 00000000B5A8: D8EC6280 6A00000C
	ds_read_b64 v[108:109], v12 offset:26112                   // 00000000B5B0: D8EC6600 6C00000C
	ds_read_b64 v[110:111], v12 offset:26240                   // 00000000B5B8: D8EC6680 6E00000C
	v_mov_b32_e32 v232, 0                                      // 00000000B5C0: 7FD00280
	v_mov_b32_e32 v233, 0                                      // 00000000B5C4: 7FD20280
	v_mov_b32_e32 v234, 0                                      // 00000000B5C8: 7FD40280
	v_mov_b32_e32 v235, 0                                      // 00000000B5CC: 7FD60280
	v_mov_b32_e32 v236, 0                                      // 00000000B5D0: 7FD80280
	v_mov_b32_e32 v237, 0                                      // 00000000B5D4: 7FDA0280
	v_mov_b32_e32 v238, 0                                      // 00000000B5D8: 7FDC0280
	v_mov_b32_e32 v239, 0                                      // 00000000B5DC: 7FDE0280
	v_mov_b32_e32 v200, 0                                      // 00000000B5E0: 7F900280
	v_mov_b32_e32 v201, 0                                      // 00000000B5E4: 7F920280
	v_mov_b32_e32 v202, 0                                      // 00000000B5E8: 7F940280
	v_mov_b32_e32 v203, 0                                      // 00000000B5EC: 7F960280
	v_mov_b32_e32 v204, 0                                      // 00000000B5F0: 7F980280
	v_mov_b32_e32 v205, 0                                      // 00000000B5F4: 7F9A0280
	v_mov_b32_e32 v206, 0                                      // 00000000B5F8: 7F9C0280
	v_mov_b32_e32 v207, 0                                      // 00000000B5FC: 7F9E0280
	s_waitcnt vmcnt(8) lgkmcnt(0)                              // 00000000B600: BF8C0078
	s_barrier                                                  // 00000000B604: BF8A0000
	s_cmp_lt_u32 s73, 16                                       // 00000000B608: BF0A9049
	s_cbranch_scc1 label_3B2F                                  // 00000000B60C: BF85162B
	s_cmp_lt_i32 s7, 2                                         // 00000000B610: BF048207
	s_cbranch_scc0 label_301C                                  // 00000000B614: BF840B16

000000000000b618 <label_2506>:
	s_waitcnt vmcnt(8) lgkmcnt(0)                              // 00000000B618: BF8C0078
	v_mul_u32_u24_dpp v41, v20, v68 row_newbcast:0 row_mask:0xf bank_mask:0xf// 00000000B61C: 105288FA FF015014
	v_mul_u32_u24_dpp v42, v20, v68 row_newbcast:4 row_mask:0xf bank_mask:0xf// 00000000B624: 105488FA FF015414
	v_mul_u32_u24_dpp v43, v20, v68 row_newbcast:8 row_mask:0xf bank_mask:0xf// 00000000B62C: 105688FA FF015814
	v_mul_u32_u24_dpp v44, v20, v68 row_newbcast:12 row_mask:0xf bank_mask:0xf// 00000000B634: 105888FA FF015C14
	v_add_u32_e32 v29, v41, v6                                 // 00000000B63C: 683A0D29
	v_add_u32_e32 v30, v42, v6                                 // 00000000B640: 683C0D2A
	v_add_u32_e32 v31, v43, v6                                 // 00000000B644: 683E0D2B
	v_add_u32_e32 v32, v44, v6                                 // 00000000B648: 68400D2C
	v_mul_u32_u24_dpp v41, v20, v78 quad_perm:[0,0,0,0] row_mask:0xf bank_mask:0xf// 00000000B64C: 10529CFA FF000014
	v_add_u32_e32 v3, v41, v74                                 // 00000000B654: 68069529
	v_mul_u32_u24_dpp v41, v20, v78 quad_perm:[0,0,0,0] row_mask:0xf bank_mask:0xf// 00000000B658: 10529CFA FF000014
	v_add_u32_e32 v71, v41, v75                                // 00000000B660: 688E9729
	v_mfma_i32_16x16x32_i8 v[128:131], a[0:1], v[96:97], 0     // 00000000B664: D3D70080 0A02C100
	v_mfma_i32_16x16x32_i8 v[128:131], a[2:3], v[98:99], v[128:131]// 00000000B66C: D3D70080 0E02C502
	buffer_load_dwordx4 a[32:35], v29, s[16:19], 0 offen       // 00000000B674: E05C1000 8084201D
	v_mfma_i32_16x16x32_i8 v[128:131], a[4:5], v[100:101], v[128:131]// 00000000B67C: D3D70080 0E02C904
	v_mfma_i32_16x16x32_i8 v[128:131], a[6:7], v[102:103], v[128:131]// 00000000B684: D3D70080 0E02CD06
	buffer_load_dword v19, v1, s[24:27], 0 offen               // 00000000B68C: E0501000 80061301
	v_mfma_i32_16x16x32_i8 v[132:135], a[8:9], v[96:97], 0     // 00000000B694: D3D70084 0A02C108
	v_mfma_i32_16x16x32_i8 v[132:135], a[10:11], v[98:99], v[132:135]// 00000000B69C: D3D70084 0E12C50A
	buffer_load_dwordx4 a[36:39], v29, s[16:19], 0 offen offset:1024// 00000000B6A4: E05C1400 8084241D
	v_mfma_i32_16x16x32_i8 v[132:135], a[12:13], v[100:101], v[132:135]// 00000000B6AC: D3D70084 0E12C90C
	v_mfma_i32_16x16x32_i8 v[132:135], a[14:15], v[102:103], v[132:135]// 00000000B6B4: D3D70084 0E12CD0E
	v_mfma_i32_16x16x32_i8 v[136:139], a[16:17], v[96:97], 0   // 00000000B6BC: D3D70088 0A02C110
	v_mfma_i32_16x16x32_i8 v[136:139], a[18:19], v[98:99], v[136:139]// 00000000B6C4: D3D70088 0E22C512
	buffer_load_dwordx4 a[40:43], v30, s[16:19], 0 offen       // 00000000B6CC: E05C1000 8084281E
	v_mfma_i32_16x16x32_i8 v[136:139], a[20:21], v[100:101], v[136:139]// 00000000B6D4: D3D70088 0E22C914
	v_mfma_i32_16x16x32_i8 v[136:139], a[22:23], v[102:103], v[136:139]// 00000000B6DC: D3D70088 0E22CD16
	v_mfma_i32_16x16x32_i8 v[140:143], a[24:25], v[96:97], 0   // 00000000B6E4: D3D7008C 0A02C118
	v_mfma_i32_16x16x32_i8 v[140:143], a[26:27], v[98:99], v[140:143]// 00000000B6EC: D3D7008C 0E32C51A
	buffer_load_dwordx4 a[44:47], v30, s[16:19], 0 offen offset:1024// 00000000B6F4: E05C1400 80842C1E
	v_mfma_i32_16x16x32_i8 v[140:143], a[28:29], v[100:101], v[140:143]// 00000000B6FC: D3D7008C 0E32C91C
	v_mfma_i32_16x16x32_i8 v[140:143], a[30:31], v[102:103], v[140:143]// 00000000B704: D3D7008C 0E32CD1E
	v_mfma_i32_16x16x32_i8 v[144:147], a[0:1], v[104:105], 0   // 00000000B70C: D3D70090 0A02D100
	v_mfma_i32_16x16x32_i8 v[144:147], a[2:3], v[106:107], v[144:147]// 00000000B714: D3D70090 0E42D502
	v_mfma_i32_16x16x32_i8 v[144:147], a[4:5], v[108:109], v[144:147]// 00000000B71C: D3D70090 0E42D904
	v_mfma_i32_16x16x32_i8 v[144:147], a[6:7], v[110:111], v[144:147]// 00000000B724: D3D70090 0E42DD06
	v_mfma_i32_16x16x32_i8 v[148:151], a[8:9], v[104:105], 0   // 00000000B72C: D3D70094 0A02D108
	v_mfma_i32_16x16x32_i8 v[148:151], a[10:11], v[106:107], v[148:151]// 00000000B734: D3D70094 0E52D50A
	v_mfma_i32_16x16x32_i8 v[148:151], a[12:13], v[108:109], v[148:151]// 00000000B73C: D3D70094 0E52D90C
	v_mfma_i32_16x16x32_i8 v[148:151], a[14:15], v[110:111], v[148:151]// 00000000B744: D3D70094 0E52DD0E
	v_mfma_i32_16x16x32_i8 v[152:155], a[16:17], v[104:105], 0 // 00000000B74C: D3D70098 0A02D110
	v_mfma_i32_16x16x32_i8 v[152:155], a[18:19], v[106:107], v[152:155]// 00000000B754: D3D70098 0E62D512
	v_mfma_i32_16x16x32_i8 v[152:155], a[20:21], v[108:109], v[152:155]// 00000000B75C: D3D70098 0E62D914
	v_mfma_i32_16x16x32_i8 v[152:155], a[22:23], v[110:111], v[152:155]// 00000000B764: D3D70098 0E62DD16
	v_mfma_i32_16x16x32_i8 v[156:159], a[24:25], v[104:105], 0 // 00000000B76C: D3D7009C 0A02D118
	v_mfma_i32_16x16x32_i8 v[156:159], a[26:27], v[106:107], v[156:159]// 00000000B774: D3D7009C 0E72D51A
	v_mfma_i32_16x16x32_i8 v[156:159], a[28:29], v[108:109], v[156:159]// 00000000B77C: D3D7009C 0E72D91C
	v_mfma_i32_16x16x32_i8 v[156:159], a[30:31], v[110:111], v[156:159]// 00000000B784: D3D7009C 0E72DD1E
	buffer_load_dword v53, v3, s[32:35], 0 offen               // 00000000B78C: E0501000 80083503
	v_mov_b32_dpp v41, v52 row_shr:4 row_mask:0xf bank_mask:0xf// 00000000B794: 7E5202FA FF011434
	v_mov_b32_dpp v42, v52 row_shl:4 row_mask:0xf bank_mask:0xf// 00000000B79C: 7E5402FA FF010434
	v_cndmask_b32_e64 v248, v52, v41, s[44:45]                 // 00000000B7A4: D10000F8 00B25334
	v_cndmask_b32_e64 v249, v42, v52, s[44:45]                 // 00000000B7AC: D10000F9 00B2692A
	v_mov_b32_dpp v41, v248 row_shr:8 row_mask:0xf bank_mask:0xf// 00000000B7B4: 7E5202FA FF0118F8
	v_mov_b32_dpp v42, v248 row_shl:8 row_mask:0xf bank_mask:0xf// 00000000B7BC: 7E5402FA FF0108F8
	v_mov_b32_dpp v43, v249 row_shr:8 row_mask:0xf bank_mask:0xf// 00000000B7C4: 7E5602FA FF0118F9
	v_mov_b32_dpp v44, v249 row_shl:8 row_mask:0xf bank_mask:0xf// 00000000B7CC: 7E5802FA FF0108F9
	v_mov_b32_e32 v45, v248                                    // 00000000B7D4: 7E5A03F8
	v_mov_b32_e32 v46, v249                                    // 00000000B7D8: 7E5C03F9
	v_cndmask_b32_e64 v248, v45, v41, s[42:43]                 // 00000000B7DC: D10000F8 00AA532D
	v_cndmask_b32_e64 v250, v45, v42, s[78:79]                 // 00000000B7E4: D10000FA 013A552D
	v_cndmask_b32_e64 v249, v46, v43, s[42:43]                 // 00000000B7EC: D10000F9 00AA572E
	v_cndmask_b32_e64 v251, v46, v44, s[78:79]                 // 00000000B7F4: D10000FB 013A592E
	v_mov_b32_dpp v41, v72 row_shr:4 row_mask:0xf bank_mask:0xf// 00000000B7FC: 7E5202FA FF011448
	v_mov_b32_dpp v42, v72 row_shl:4 row_mask:0xf bank_mask:0xf// 00000000B804: 7E5402FA FF010448
	v_cndmask_b32_e64 v252, v72, v41, s[44:45]                 // 00000000B80C: D10000FC 00B25348
	v_cndmask_b32_e64 v253, v42, v72, s[44:45]                 // 00000000B814: D10000FD 00B2912A
	v_mov_b32_dpp v41, v252 row_shr:8 row_mask:0xf bank_mask:0xf// 00000000B81C: 7E5202FA FF0118FC
	v_mov_b32_dpp v42, v252 row_shl:8 row_mask:0xf bank_mask:0xf// 00000000B824: 7E5402FA FF0108FC
	v_mov_b32_dpp v43, v253 row_shr:8 row_mask:0xf bank_mask:0xf// 00000000B82C: 7E5602FA FF0118FD
	v_mov_b32_dpp v44, v253 row_shl:8 row_mask:0xf bank_mask:0xf// 00000000B834: 7E5802FA FF0108FD
	v_mov_b32_e32 v45, v252                                    // 00000000B83C: 7E5A03FC
	v_mov_b32_e32 v46, v253                                    // 00000000B840: 7E5C03FD
	v_cndmask_b32_e64 v252, v45, v41, s[42:43]                 // 00000000B844: D10000FC 00AA532D
	v_cndmask_b32_e64 v254, v45, v42, s[78:79]                 // 00000000B84C: D10000FE 013A552D
	v_cndmask_b32_e64 v253, v46, v43, s[42:43]                 // 00000000B854: D10000FD 00AA572E
	v_cndmask_b32_e64 v255, v46, v44, s[78:79]                 // 00000000B85C: D10000FF 013A592E
	buffer_load_dword v73, v71, s[36:39], 0 offen              // 00000000B864: E0501000 80094947
	v_cvt_f32_i32_e32 v128, v128                               // 00000000B86C: 7F000B80
	v_cvt_f32_i32_e32 v129, v129                               // 00000000B870: 7F020B81
	v_cvt_f32_i32_e32 v130, v130                               // 00000000B874: 7F040B82
	v_cvt_f32_i32_e32 v131, v131                               // 00000000B878: 7F060B83
	v_cvt_f32_i32_e32 v132, v132                               // 00000000B87C: 7F080B84
	v_cvt_f32_i32_e32 v133, v133                               // 00000000B880: 7F0A0B85
	v_cvt_f32_i32_e32 v134, v134                               // 00000000B884: 7F0C0B86
	v_cvt_f32_i32_e32 v135, v135                               // 00000000B888: 7F0E0B87
	v_cvt_f32_i32_e32 v136, v136                               // 00000000B88C: 7F100B88
	v_cvt_f32_i32_e32 v137, v137                               // 00000000B890: 7F120B89
	v_cvt_f32_i32_e32 v138, v138                               // 00000000B894: 7F140B8A
	v_cvt_f32_i32_e32 v139, v139                               // 00000000B898: 7F160B8B
	v_cvt_f32_i32_e32 v140, v140                               // 00000000B89C: 7F180B8C
	v_cvt_f32_i32_e32 v141, v141                               // 00000000B8A0: 7F1A0B8D
	v_cvt_f32_i32_e32 v142, v142                               // 00000000B8A4: 7F1C0B8E
	v_cvt_f32_i32_e32 v143, v143                               // 00000000B8A8: 7F1E0B8F
	v_mul_f32_e32 v128, v54, v128                              // 00000000B8AC: 0B010136
	v_mul_f32_e32 v129, v54, v129                              // 00000000B8B0: 0B030336
	v_mul_f32_e32 v130, v54, v130                              // 00000000B8B4: 0B050536
	v_mul_f32_e32 v131, v54, v131                              // 00000000B8B8: 0B070736
	v_mul_f32_e32 v132, v54, v132                              // 00000000B8BC: 0B090936
	v_mul_f32_e32 v133, v54, v133                              // 00000000B8C0: 0B0B0B36
	v_mul_f32_e32 v134, v54, v134                              // 00000000B8C4: 0B0D0D36
	v_mul_f32_e32 v135, v54, v135                              // 00000000B8C8: 0B0F0F36
	v_mul_f32_e32 v136, v54, v136                              // 00000000B8CC: 0B111136
	v_mul_f32_e32 v137, v54, v137                              // 00000000B8D0: 0B131336
	v_mul_f32_e32 v138, v54, v138                              // 00000000B8D4: 0B151536
	v_mul_f32_e32 v139, v54, v139                              // 00000000B8D8: 0B171736
	v_mul_f32_e32 v140, v54, v140                              // 00000000B8DC: 0B191936
	v_mul_f32_e32 v141, v54, v141                              // 00000000B8E0: 0B1B1B36
	v_mul_f32_e32 v142, v54, v142                              // 00000000B8E4: 0B1D1D36
	v_mul_f32_e32 v143, v54, v143                              // 00000000B8E8: 0B1F1F36
	buffer_load_dwordx4 a[48:51], v31, s[16:19], 0 offen       // 00000000B8EC: E05C1000 8084301F
	v_mul_f32_dpp v128, v248, v128 quad_perm:[0,0,0,0] row_mask:0xf bank_mask:0xf// 00000000B8F4: 0B0100FA FF0000F8
	v_mul_f32_dpp v129, v248, v129 quad_perm:[1,1,1,1] row_mask:0xf bank_mask:0xf// 00000000B8FC: 0B0302FA FF0055F8
	v_mul_f32_dpp v130, v248, v130 quad_perm:[2,2,2,2] row_mask:0xf bank_mask:0xf// 00000000B904: 0B0504FA FF00AAF8
	v_mul_f32_dpp v131, v248, v131 quad_perm:[3,3,3,3] row_mask:0xf bank_mask:0xf// 00000000B90C: 0B0706FA FF00FFF8
	v_mul_f32_dpp v132, v249, v132 quad_perm:[0,0,0,0] row_mask:0xf bank_mask:0xf// 00000000B914: 0B0908FA FF0000F9
	v_mul_f32_dpp v133, v249, v133 quad_perm:[1,1,1,1] row_mask:0xf bank_mask:0xf// 00000000B91C: 0B0B0AFA FF0055F9
	v_mul_f32_dpp v134, v249, v134 quad_perm:[2,2,2,2] row_mask:0xf bank_mask:0xf// 00000000B924: 0B0D0CFA FF00AAF9
	v_mul_f32_dpp v135, v249, v135 quad_perm:[3,3,3,3] row_mask:0xf bank_mask:0xf// 00000000B92C: 0B0F0EFA FF00FFF9
	v_mul_f32_dpp v136, v250, v136 quad_perm:[0,0,0,0] row_mask:0xf bank_mask:0xf// 00000000B934: 0B1110FA FF0000FA
	v_mul_f32_dpp v137, v250, v137 quad_perm:[1,1,1,1] row_mask:0xf bank_mask:0xf// 00000000B93C: 0B1312FA FF0055FA
	v_mul_f32_dpp v138, v250, v138 quad_perm:[2,2,2,2] row_mask:0xf bank_mask:0xf// 00000000B944: 0B1514FA FF00AAFA
	v_mul_f32_dpp v139, v250, v139 quad_perm:[3,3,3,3] row_mask:0xf bank_mask:0xf// 00000000B94C: 0B1716FA FF00FFFA
	v_mul_f32_dpp v140, v251, v140 quad_perm:[0,0,0,0] row_mask:0xf bank_mask:0xf// 00000000B954: 0B1918FA FF0000FB
	v_mul_f32_dpp v141, v251, v141 quad_perm:[1,1,1,1] row_mask:0xf bank_mask:0xf// 00000000B95C: 0B1B1AFA FF0055FB
	v_mul_f32_dpp v142, v251, v142 quad_perm:[2,2,2,2] row_mask:0xf bank_mask:0xf// 00000000B964: 0B1D1CFA FF00AAFB
	v_mul_f32_dpp v143, v251, v143 quad_perm:[3,3,3,3] row_mask:0xf bank_mask:0xf// 00000000B96C: 0B1F1EFA FF00FFFB
	buffer_load_dwordx4 a[52:55], v31, s[16:19], 0 offen offset:1024// 00000000B974: E05C1400 8084341F
	s_cmp_le_i32 s90, s89                                      // 00000000B97C: BF05595A
	s_cbranch_scc1 label_2654                                  // 00000000B980: BF850073
	v_mov_b32_e32 v69, 0xff800000                              // 00000000B984: 7E8A02FF FF800000
	s_mov_b32 s60, s90                                         // 00000000B98C: BEBC005A
	s_add_u32 s61, s89, 0xff                                   // 00000000B990: 803DFF59 000000FF
	v_mov_b32_e32 v41, s61                                     // 00000000B998: 7E52023D
	v_lshrrev_b32_e32 v240, 4, v0                              // 00000000B99C: 21E00084
	v_mul_i32_i24_e32 v240, 4, v240                            // 00000000B9A0: 0DE1E084
	v_add_u32_e32 v240, s60, v240                              // 00000000B9A4: 69E1E03C
	v_and_b32_e32 v42, 15, v0                                  // 00000000B9A8: 2654008F
	v_lshrrev_b32_e32 v42, 3, v42                              // 00000000B9AC: 20545483
	s_mov_b32 s61, 0                                           // 00000000B9B0: BEBD0080
	s_mul_i32 s60, 16, s7                                      // 00000000B9B4: 923C0790
	v_add_u32_e32 v42, s61, v42                                // 00000000B9B8: 6854543D
	v_sub_u32_e32 v240, v240, v42                              // 00000000B9BC: 6BE055F0
	v_add_u32_e32 v240, s60, v240                              // 00000000B9C0: 69E1E03C
	v_add_u32_e32 v241, 1, v240                                // 00000000B9C4: 69E3E081
	v_add_u32_e32 v242, 2, v240                                // 00000000B9C8: 69E5E082
	v_add_u32_e32 v243, 3, v240                                // 00000000B9CC: 69E7E083
	v_cmp_le_u32_e64 s[40:41], v240, v41                       // 00000000B9D0: D0CB0028 000253F0
	v_add_u32_e32 v240, 64, v240                               // 00000000B9D8: 69E1E0C0
	s_nop 0                                                    // 00000000B9DC: BF800000
	v_cndmask_b32_e64 v128, v69, v128, s[40:41]                // 00000000B9E0: D1000080 00A30145
	v_cmp_le_u32_e64 s[40:41], v241, v41                       // 00000000B9E8: D0CB0028 000253F1
	v_add_u32_e32 v241, 64, v241                               // 00000000B9F0: 69E3E2C0
	s_nop 0                                                    // 00000000B9F4: BF800000
	v_cndmask_b32_e64 v129, v69, v129, s[40:41]                // 00000000B9F8: D1000081 00A30345
	v_cmp_le_u32_e64 s[40:41], v242, v41                       // 00000000BA00: D0CB0028 000253F2
	v_add_u32_e32 v242, 64, v242                               // 00000000BA08: 69E5E4C0
	s_nop 0                                                    // 00000000BA0C: BF800000
	v_cndmask_b32_e64 v130, v69, v130, s[40:41]                // 00000000BA10: D1000082 00A30545
	v_cmp_le_u32_e64 s[40:41], v243, v41                       // 00000000BA18: D0CB0028 000253F3
	v_add_u32_e32 v243, 64, v243                               // 00000000BA20: 69E7E6C0
	s_nop 0                                                    // 00000000BA24: BF800000
	v_cndmask_b32_e64 v131, v69, v131, s[40:41]                // 00000000BA28: D1000083 00A30745
	v_cmp_le_u32_e64 s[40:41], v240, v41                       // 00000000BA30: D0CB0028 000253F0
	v_add_u32_e32 v240, 64, v240                               // 00000000BA38: 69E1E0C0
	s_nop 0                                                    // 00000000BA3C: BF800000
	v_cndmask_b32_e64 v132, v69, v132, s[40:41]                // 00000000BA40: D1000084 00A30945
	v_cmp_le_u32_e64 s[40:41], v241, v41                       // 00000000BA48: D0CB0028 000253F1
	v_add_u32_e32 v241, 64, v241                               // 00000000BA50: 69E3E2C0
	s_nop 0                                                    // 00000000BA54: BF800000
	v_cndmask_b32_e64 v133, v69, v133, s[40:41]                // 00000000BA58: D1000085 00A30B45
	v_cmp_le_u32_e64 s[40:41], v242, v41                       // 00000000BA60: D0CB0028 000253F2
	v_add_u32_e32 v242, 64, v242                               // 00000000BA68: 69E5E4C0
	s_nop 0                                                    // 00000000BA6C: BF800000
	v_cndmask_b32_e64 v134, v69, v134, s[40:41]                // 00000000BA70: D1000086 00A30D45
	v_cmp_le_u32_e64 s[40:41], v243, v41                       // 00000000BA78: D0CB0028 000253F3
	v_add_u32_e32 v243, 64, v243                               // 00000000BA80: 69E7E6C0
	s_nop 0                                                    // 00000000BA84: BF800000
	v_cndmask_b32_e64 v135, v69, v135, s[40:41]                // 00000000BA88: D1000087 00A30F45
	v_cmp_le_u32_e64 s[40:41], v240, v41                       // 00000000BA90: D0CB0028 000253F0
	v_add_u32_e32 v240, 64, v240                               // 00000000BA98: 69E1E0C0
	s_nop 0                                                    // 00000000BA9C: BF800000
	v_cndmask_b32_e64 v136, v69, v136, s[40:41]                // 00000000BAA0: D1000088 00A31145
	v_cmp_le_u32_e64 s[40:41], v241, v41                       // 00000000BAA8: D0CB0028 000253F1
	v_add_u32_e32 v241, 64, v241                               // 00000000BAB0: 69E3E2C0
	s_nop 0                                                    // 00000000BAB4: BF800000
	v_cndmask_b32_e64 v137, v69, v137, s[40:41]                // 00000000BAB8: D1000089 00A31345
	v_cmp_le_u32_e64 s[40:41], v242, v41                       // 00000000BAC0: D0CB0028 000253F2
	v_add_u32_e32 v242, 64, v242                               // 00000000BAC8: 69E5E4C0
	s_nop 0                                                    // 00000000BACC: BF800000
	v_cndmask_b32_e64 v138, v69, v138, s[40:41]                // 00000000BAD0: D100008A 00A31545
	v_cmp_le_u32_e64 s[40:41], v243, v41                       // 00000000BAD8: D0CB0028 000253F3
	v_add_u32_e32 v243, 64, v243                               // 00000000BAE0: 69E7E6C0
	s_nop 0                                                    // 00000000BAE4: BF800000
	v_cndmask_b32_e64 v139, v69, v139, s[40:41]                // 00000000BAE8: D100008B 00A31745
	v_cmp_le_u32_e64 s[40:41], v240, v41                       // 00000000BAF0: D0CB0028 000253F0
	v_add_u32_e32 v240, 64, v240                               // 00000000BAF8: 69E1E0C0
	s_nop 0                                                    // 00000000BAFC: BF800000
	v_cndmask_b32_e64 v140, v69, v140, s[40:41]                // 00000000BB00: D100008C 00A31945
	v_cmp_le_u32_e64 s[40:41], v241, v41                       // 00000000BB08: D0CB0028 000253F1
	v_add_u32_e32 v241, 64, v241                               // 00000000BB10: 69E3E2C0
	s_nop 0                                                    // 00000000BB14: BF800000
	v_cndmask_b32_e64 v141, v69, v141, s[40:41]                // 00000000BB18: D100008D 00A31B45
	v_cmp_le_u32_e64 s[40:41], v242, v41                       // 00000000BB20: D0CB0028 000253F2
	v_add_u32_e32 v242, 64, v242                               // 00000000BB28: 69E5E4C0
	s_nop 0                                                    // 00000000BB2C: BF800000
	v_cndmask_b32_e64 v142, v69, v142, s[40:41]                // 00000000BB30: D100008E 00A31D45
	v_cmp_le_u32_e64 s[40:41], v243, v41                       // 00000000BB38: D0CB0028 000253F3
	v_add_u32_e32 v243, 64, v243                               // 00000000BB40: 69E7E6C0
	s_nop 0                                                    // 00000000BB44: BF800000
	v_cndmask_b32_e64 v143, v69, v143, s[40:41]                // 00000000BB48: D100008F 00A31F45

000000000000bb50 <label_2654>:
	v_mov_b32_e32 v62, v128                                    // 00000000BB50: 7E7C0380
	v_max3_f32 v62, v128, v129, v62                            // 00000000BB54: D1D3003E 04FB0380
	v_max3_f32 v62, v130, v131, v62                            // 00000000BB5C: D1D3003E 04FB0782
	v_max3_f32 v62, v132, v133, v62                            // 00000000BB64: D1D3003E 04FB0B84
	v_max3_f32 v62, v134, v135, v62                            // 00000000BB6C: D1D3003E 04FB0F86
	v_max3_f32 v62, v136, v137, v62                            // 00000000BB74: D1D3003E 04FB1388
	v_max3_f32 v62, v138, v139, v62                            // 00000000BB7C: D1D3003E 04FB178A
	v_max3_f32 v62, v140, v141, v62                            // 00000000BB84: D1D3003E 04FB1B8C
	v_max3_f32 v62, v142, v143, v62                            // 00000000BB8C: D1D3003E 04FB1F8E
	ds_write_b32 v11, v62 offset:16896                         // 00000000BB94: D81A4200 00003E0B
	buffer_load_dwordx4 a[56:59], v32, s[16:19], 0 offen       // 00000000BB9C: E05C1000 80843820
	v_mul_u32_u24_dpp v41, v20, v68 row_newbcast:1 row_mask:0xf bank_mask:0xf// 00000000BBA4: 105288FA FF015114
	v_mul_u32_u24_dpp v42, v20, v68 row_newbcast:5 row_mask:0xf bank_mask:0xf// 00000000BBAC: 105488FA FF015514
	v_mul_u32_u24_dpp v43, v20, v68 row_newbcast:9 row_mask:0xf bank_mask:0xf// 00000000BBB4: 105688FA FF015914
	v_mul_u32_u24_dpp v44, v20, v68 row_newbcast:13 row_mask:0xf bank_mask:0xf// 00000000BBBC: 105888FA FF015D14
	v_add_u32_e32 v37, v41, v7                                 // 00000000BBC4: 684A0F29
	v_add_u32_e32 v38, v42, v7                                 // 00000000BBC8: 684C0F2A
	v_add_u32_e32 v39, v43, v7                                 // 00000000BBCC: 684E0F2B
	v_add_u32_e32 v40, v44, v7                                 // 00000000BBD0: 68500F2C
	v_mul_f32_e32 v224, v63, v224                              // 00000000BBD4: 0BC1C13F
	v_mul_f32_e32 v225, v63, v225                              // 00000000BBD8: 0BC3C33F
	v_mul_f32_e32 v226, v63, v226                              // 00000000BBDC: 0BC5C53F
	v_mul_f32_e32 v227, v63, v227                              // 00000000BBE0: 0BC7C73F
	v_mul_f32_e32 v228, v63, v228                              // 00000000BBE4: 0BC9C93F
	v_mul_f32_e32 v229, v63, v229                              // 00000000BBE8: 0BCBCB3F
	v_mul_f32_e32 v230, v63, v230                              // 00000000BBEC: 0BCDCD3F
	v_mul_f32_e32 v231, v63, v231                              // 00000000BBF0: 0BCFCF3F
	s_waitcnt lgkmcnt(0)                                       // 00000000BBF4: BF8CC07F
	s_barrier                                                  // 00000000BBF8: BF8A0000
	ds_read_b32 v80, v10 offset:16896                          // 00000000BBFC: D86C4200 5000000A
	ds_read_b32 v81, v10 offset:16960                          // 00000000BC04: D86C4240 5100000A
	ds_read_b32 v82, v10 offset:17024                          // 00000000BC0C: D86C4280 5200000A
	ds_read_b32 v83, v10 offset:17088                          // 00000000BC14: D86C42C0 5300000A
	ds_read_b32 v84, v10 offset:17152                          // 00000000BC1C: D86C4300 5400000A
	ds_read_b32 v85, v10 offset:17216                          // 00000000BC24: D86C4340 5500000A
	ds_read_b32 v86, v10 offset:17280                          // 00000000BC2C: D86C4380 5600000A
	ds_read_b32 v87, v10 offset:17344                          // 00000000BC34: D86C43C0 5700000A
	ds_read_b32 v88, v10 offset:17408                          // 00000000BC3C: D86C4400 5800000A
	ds_read_b32 v89, v10 offset:17472                          // 00000000BC44: D86C4440 5900000A
	ds_read_b32 v90, v10 offset:17536                          // 00000000BC4C: D86C4480 5A00000A
	ds_read_b32 v91, v10 offset:17600                          // 00000000BC54: D86C44C0 5B00000A
	ds_read_b32 v92, v10 offset:17664                          // 00000000BC5C: D86C4500 5C00000A
	ds_read_b32 v93, v10 offset:17728                          // 00000000BC64: D86C4540 5D00000A
	ds_read_b32 v94, v10 offset:17792                          // 00000000BC6C: D86C4580 5E00000A
	ds_read_b32 v95, v10 offset:17856                          // 00000000BC74: D86C45C0 5F00000A
	buffer_load_dwordx4 a[60:63], v32, s[16:19], 0 offen offset:1024// 00000000BC7C: E05C1400 80843C20
	v_cvt_f32_i32_e32 v192, v192                               // 00000000BC84: 7F800BC0
	v_cvt_f32_i32_e32 v193, v193                               // 00000000BC88: 7F820BC1
	v_cvt_f32_i32_e32 v194, v194                               // 00000000BC8C: 7F840BC2
	v_cvt_f32_i32_e32 v195, v195                               // 00000000BC90: 7F860BC3
	v_cvt_f32_i32_e32 v196, v196                               // 00000000BC94: 7F880BC4
	v_cvt_f32_i32_e32 v197, v197                               // 00000000BC98: 7F8A0BC5
	v_cvt_f32_i32_e32 v198, v198                               // 00000000BC9C: 7F8C0BC6
	v_cvt_f32_i32_e32 v199, v199                               // 00000000BCA0: 7F8E0BC7
	v_mul_f32_e32 v192, v58, v192                              // 00000000BCA4: 0B81813A
	v_mul_f32_e32 v193, v58, v193                              // 00000000BCA8: 0B83833A
	v_mul_f32_e32 v194, v58, v194                              // 00000000BCAC: 0B85853A
	v_mul_f32_e32 v195, v58, v195                              // 00000000BCB0: 0B87873A
	v_mul_f32_e32 v196, v58, v196                              // 00000000BCB4: 0B89893A
	v_mul_f32_e32 v197, v58, v197                              // 00000000BCB8: 0B8B8B3A
	v_mul_f32_e32 v198, v58, v198                              // 00000000BCBC: 0B8D8D3A
	v_mul_f32_e32 v199, v58, v199                              // 00000000BCC0: 0B8F8F3A
	s_waitcnt lgkmcnt(0)                                       // 00000000BCC4: BF8CC07F
	v_max3_f32 v62, v80, v81, v62                              // 00000000BCC8: D1D3003E 04FAA350
	v_max3_f32 v62, v82, v83, v62                              // 00000000BCD0: D1D3003E 04FAA752
	v_max3_f32 v62, v84, v85, v62                              // 00000000BCD8: D1D3003E 04FAAB54
	v_max3_f32 v62, v86, v87, v62                              // 00000000BCE0: D1D3003E 04FAAF56
	v_max3_f32 v62, v88, v89, v62                              // 00000000BCE8: D1D3003E 04FAB358
	v_max3_f32 v62, v90, v91, v62                              // 00000000BCF0: D1D3003E 04FAB75A
	v_max3_f32 v62, v92, v93, v62                              // 00000000BCF8: D1D3003E 04FABB5C
	v_max3_f32 v62, v94, v95, v62                              // 00000000BD00: D1D3003E 04FABF5E
	buffer_load_dwordx4 a[96:99], v37, s[20:23], 0 offen       // 00000000BD08: E05C1000 80856025
	v_mov_b32_e32 v41, 0xff800000                              // 00000000BD10: 7E5202FF FF800000
	v_cmp_eq_u32_e64 s[40:41], v41, v14                        // 00000000BD18: D0CA0028 00021D29
	s_nop 1                                                    // 00000000BD20: BF800001
	v_max_f32_e32 v18, v62, v14                                // 00000000BD24: 16241D3E
	v_mul_f32_e32 v67, s64, v18                                // 00000000BD28: 0A862440
	v_fma_f32 v128, v128, s64, -v67                            // 00000000BD2C: D1CB0080 850C8180
	v_fma_f32 v129, v129, s64, -v67                            // 00000000BD34: D1CB0081 850C8181
	v_fma_f32 v130, v130, s64, -v67                            // 00000000BD3C: D1CB0082 850C8182
	v_fma_f32 v131, v131, s64, -v67                            // 00000000BD44: D1CB0083 850C8183
	v_fma_f32 v132, v132, s64, -v67                            // 00000000BD4C: D1CB0084 850C8184
	v_fma_f32 v133, v133, s64, -v67                            // 00000000BD54: D1CB0085 850C8185
	v_fma_f32 v134, v134, s64, -v67                            // 00000000BD5C: D1CB0086 850C8186
	v_fma_f32 v135, v135, s64, -v67                            // 00000000BD64: D1CB0087 850C8187
	v_fma_f32 v136, v136, s64, -v67                            // 00000000BD6C: D1CB0088 850C8188
	v_fma_f32 v137, v137, s64, -v67                            // 00000000BD74: D1CB0089 850C8189
	v_fma_f32 v138, v138, s64, -v67                            // 00000000BD7C: D1CB008A 850C818A
	v_fma_f32 v139, v139, s64, -v67                            // 00000000BD84: D1CB008B 850C818B
	v_fma_f32 v140, v140, s64, -v67                            // 00000000BD8C: D1CB008C 850C818C
	v_fma_f32 v141, v141, s64, -v67                            // 00000000BD94: D1CB008D 850C818D
	v_fma_f32 v142, v142, s64, -v67                            // 00000000BD9C: D1CB008E 850C818E
	v_fma_f32 v143, v143, s64, -v67                            // 00000000BDA4: D1CB008F 850C818F
	buffer_load_dwordx4 a[100:103], v38, s[20:23], 0 offen     // 00000000BDAC: E05C1000 80856426
	v_exp_f32_e32 v128, v128                                   // 00000000BDB4: 7F004180
	v_exp_f32_e32 v129, v129                                   // 00000000BDB8: 7F024181
	v_exp_f32_e32 v130, v130                                   // 00000000BDBC: 7F044182
	v_exp_f32_e32 v131, v131                                   // 00000000BDC0: 7F064183
	v_exp_f32_e32 v132, v132                                   // 00000000BDC4: 7F084184
	v_exp_f32_e32 v133, v133                                   // 00000000BDC8: 7F0A4185
	v_exp_f32_e32 v134, v134                                   // 00000000BDCC: 7F0C4186
	v_exp_f32_e32 v135, v135                                   // 00000000BDD0: 7F0E4187
	v_exp_f32_e32 v136, v136                                   // 00000000BDD4: 7F104188
	v_exp_f32_e32 v137, v137                                   // 00000000BDD8: 7F124189
	v_exp_f32_e32 v138, v138                                   // 00000000BDDC: 7F14418A
	v_exp_f32_e32 v139, v139                                   // 00000000BDE0: 7F16418B
	v_exp_f32_e32 v140, v140                                   // 00000000BDE4: 7F18418C
	v_exp_f32_e32 v141, v141                                   // 00000000BDE8: 7F1A418D
	v_exp_f32_e32 v142, v142                                   // 00000000BDEC: 7F1C418E
	v_exp_f32_e32 v143, v143                                   // 00000000BDF0: 7F1E418F
	buffer_load_dwordx4 a[104:107], v39, s[20:23], 0 offen     // 00000000BDF4: E05C1000 80856827
	v_mul_f32_dpp v240, v252, v128 quad_perm:[0,0,0,0] row_mask:0xf bank_mask:0xf// 00000000BDFC: 0BE100FA FF0000FC
	v_mul_f32_dpp v241, v252, v129 quad_perm:[1,1,1,1] row_mask:0xf bank_mask:0xf// 00000000BE04: 0BE302FA FF0055FC
	v_mul_f32_dpp v242, v252, v130 quad_perm:[2,2,2,2] row_mask:0xf bank_mask:0xf// 00000000BE0C: 0BE504FA FF00AAFC
	v_mul_f32_dpp v243, v252, v131 quad_perm:[3,3,3,3] row_mask:0xf bank_mask:0xf// 00000000BE14: 0BE706FA FF00FFFC
	v_mul_f32_dpp v244, v253, v132 quad_perm:[0,0,0,0] row_mask:0xf bank_mask:0xf// 00000000BE1C: 0BE908FA FF0000FD
	v_mul_f32_dpp v245, v253, v133 quad_perm:[1,1,1,1] row_mask:0xf bank_mask:0xf// 00000000BE24: 0BEB0AFA FF0055FD
	v_mul_f32_dpp v246, v253, v134 quad_perm:[2,2,2,2] row_mask:0xf bank_mask:0xf// 00000000BE2C: 0BED0CFA FF00AAFD
	v_mul_f32_dpp v247, v253, v135 quad_perm:[3,3,3,3] row_mask:0xf bank_mask:0xf// 00000000BE34: 0BEF0EFA FF00FFFD
	v_mul_f32_dpp v248, v254, v136 quad_perm:[0,0,0,0] row_mask:0xf bank_mask:0xf// 00000000BE3C: 0BF110FA FF0000FE
	v_mul_f32_dpp v249, v254, v137 quad_perm:[1,1,1,1] row_mask:0xf bank_mask:0xf// 00000000BE44: 0BF312FA FF0055FE
	v_mul_f32_dpp v250, v254, v138 quad_perm:[2,2,2,2] row_mask:0xf bank_mask:0xf// 00000000BE4C: 0BF514FA FF00AAFE
	v_mul_f32_dpp v251, v254, v139 quad_perm:[3,3,3,3] row_mask:0xf bank_mask:0xf// 00000000BE54: 0BF716FA FF00FFFE
	v_mul_f32_dpp v252, v255, v140 quad_perm:[0,0,0,0] row_mask:0xf bank_mask:0xf// 00000000BE5C: 0BF918FA FF0000FF
	v_mul_f32_dpp v253, v255, v141 quad_perm:[1,1,1,1] row_mask:0xf bank_mask:0xf// 00000000BE64: 0BFB1AFA FF0055FF
	v_mul_f32_dpp v254, v255, v142 quad_perm:[2,2,2,2] row_mask:0xf bank_mask:0xf// 00000000BE6C: 0BFD1CFA FF00AAFF
	v_mul_f32_dpp v255, v255, v143 quad_perm:[3,3,3,3] row_mask:0xf bank_mask:0xf// 00000000BE74: 0BFF1EFA FF00FFFF
	v_mov_b32_e32 v62, 0x358637bd                              // 00000000BE7C: 7E7C02FF 358637BD
	v_max3_f32 v62, |v240|, |v241|, v62                        // 00000000BE84: D1D3033E 04FBE3F0
	v_max3_f32 v62, |v242|, |v243|, v62                        // 00000000BE8C: D1D3033E 04FBE7F2
	v_max3_f32 v62, |v244|, |v245|, v62                        // 00000000BE94: D1D3033E 04FBEBF4
	v_max3_f32 v62, |v246|, |v247|, v62                        // 00000000BE9C: D1D3033E 04FBEFF6
	v_max3_f32 v62, |v248|, |v249|, v62                        // 00000000BEA4: D1D3033E 04FBF3F8
	v_max3_f32 v62, |v250|, |v251|, v62                        // 00000000BEAC: D1D3033E 04FBF7FA
	v_max3_f32 v62, |v252|, |v253|, v62                        // 00000000BEB4: D1D3033E 04FBFBFC
	v_max3_f32 v62, |v254|, |v255|, v62                        // 00000000BEBC: D1D3033E 04FBFFFE
	buffer_load_dwordx4 a[108:111], v40, s[20:23], 0 offen     // 00000000BEC4: E05C1000 80856C28
	ds_write_b32 v11, v62 offset:20992                         // 00000000BECC: D81A5200 00003E0B
	v_sub_f32_e32 v63, v14, v18                                // 00000000BED4: 047E250E
	v_cndmask_b32_e64 v63, v63, 0, s[40:41]                    // 00000000BED8: D100003F 00A1013F
	v_mov_b32_e32 v14, v18                                     // 00000000BEE0: 7E1C0312
	v_mul_f32_e32 v63, s64, v63                                // 00000000BEE4: 0A7E7E40
	v_exp_f32_e32 v63, v63                                     // 00000000BEE8: 7E7E413F
	s_waitcnt lgkmcnt(0)                                       // 00000000BEEC: BF8CC07F
	s_barrier                                                  // 00000000BEF0: BF8A0000
	ds_read_b32 v80, v10 offset:20992                          // 00000000BEF4: D86C5200 5000000A
	ds_read_b32 v81, v10 offset:21056                          // 00000000BEFC: D86C5240 5100000A
	ds_read_b32 v82, v10 offset:21120                          // 00000000BF04: D86C5280 5200000A
	ds_read_b32 v83, v10 offset:21184                          // 00000000BF0C: D86C52C0 5300000A
	ds_read_b32 v84, v10 offset:21248                          // 00000000BF14: D86C5300 5400000A
	ds_read_b32 v85, v10 offset:21312                          // 00000000BF1C: D86C5340 5500000A
	ds_read_b32 v86, v10 offset:21376                          // 00000000BF24: D86C5380 5600000A
	ds_read_b32 v87, v10 offset:21440                          // 00000000BF2C: D86C53C0 5700000A
	ds_read_b32 v88, v10 offset:21504                          // 00000000BF34: D86C5400 5800000A
	ds_read_b32 v89, v10 offset:21568                          // 00000000BF3C: D86C5440 5900000A
	ds_read_b32 v90, v10 offset:21632                          // 00000000BF44: D86C5480 5A00000A
	ds_read_b32 v91, v10 offset:21696                          // 00000000BF4C: D86C54C0 5B00000A
	ds_read_b32 v92, v10 offset:21760                          // 00000000BF54: D86C5500 5C00000A
	ds_read_b32 v93, v10 offset:21824                          // 00000000BF5C: D86C5540 5D00000A
	ds_read_b32 v94, v10 offset:21888                          // 00000000BF64: D86C5580 5E00000A
	ds_read_b32 v95, v10 offset:21952                          // 00000000BF6C: D86C55C0 5F00000A
	v_mul_f32_e32 v47, v63, v47                                // 00000000BF74: 0A5E5F3F
	v_mov_b32_e32 v18, v128                                    // 00000000BF78: 7E240380
	v_add_f32_e32 v18, v129, v18                               // 00000000BF7C: 02242581
	v_add_f32_e32 v18, v130, v18                               // 00000000BF80: 02242582
	v_add_f32_e32 v18, v131, v18                               // 00000000BF84: 02242583
	v_add_f32_e32 v18, v132, v18                               // 00000000BF88: 02242584
	v_add_f32_e32 v18, v133, v18                               // 00000000BF8C: 02242585
	v_add_f32_e32 v18, v134, v18                               // 00000000BF90: 02242586
	v_add_f32_e32 v18, v135, v18                               // 00000000BF94: 02242587
	v_add_f32_e32 v18, v136, v18                               // 00000000BF98: 02242588
	v_add_f32_e32 v18, v137, v18                               // 00000000BF9C: 02242589
	v_add_f32_e32 v18, v138, v18                               // 00000000BFA0: 0224258A
	v_add_f32_e32 v18, v139, v18                               // 00000000BFA4: 0224258B
	v_add_f32_e32 v18, v140, v18                               // 00000000BFA8: 0224258C
	v_add_f32_e32 v18, v141, v18                               // 00000000BFAC: 0224258D
	v_add_f32_e32 v18, v142, v18                               // 00000000BFB0: 0224258E
	v_add_f32_e32 v18, v143, v18                               // 00000000BFB4: 0224258F
	v_add_f32_e32 v47, v18, v47                                // 00000000BFB8: 025E5F12
	s_waitcnt lgkmcnt(0)                                       // 00000000BFBC: BF8CC07F
	v_max3_f32 v62, |v80|, |v81|, v62                          // 00000000BFC0: D1D3033E 04FAA350
	v_max3_f32 v62, |v82|, |v83|, v62                          // 00000000BFC8: D1D3033E 04FAA752
	v_max3_f32 v62, |v84|, |v85|, v62                          // 00000000BFD0: D1D3033E 04FAAB54
	v_max3_f32 v62, |v86|, |v87|, v62                          // 00000000BFD8: D1D3033E 04FAAF56
	v_max3_f32 v62, |v88|, |v89|, v62                          // 00000000BFE0: D1D3033E 04FAB358
	v_max3_f32 v62, |v90|, |v91|, v62                          // 00000000BFE8: D1D3033E 04FAB75A
	v_max3_f32 v62, |v92|, |v93|, v62                          // 00000000BFF0: D1D3033E 04FABB5C
	v_max3_f32 v62, |v94|, |v95|, v62                          // 00000000BFF8: D1D3033E 04FABF5E
	s_nop 2                                                    // 00000000C000: BF800002
	v_rcp_f32_e32 v62, v62                                     // 00000000C004: 7E7C453E
	s_nop 1                                                    // 00000000C008: BF800001
	v_mul_f32_e32 v62, 0x42fe0000, v62                         // 00000000C00C: 0A7C7CFF 42FE0000
	v_mul_f32_e32 v128, v62, v240                              // 00000000C014: 0B01E13E
	v_mul_f32_e32 v129, v62, v241                              // 00000000C018: 0B03E33E
	v_mul_f32_e32 v130, v62, v242                              // 00000000C01C: 0B05E53E
	v_mul_f32_e32 v131, v62, v243                              // 00000000C020: 0B07E73E
	v_mul_f32_e32 v132, v62, v244                              // 00000000C024: 0B09E93E
	v_mul_f32_e32 v133, v62, v245                              // 00000000C028: 0B0BEB3E
	v_mul_f32_e32 v134, v62, v246                              // 00000000C02C: 0B0DED3E
	v_mul_f32_e32 v135, v62, v247                              // 00000000C030: 0B0FEF3E
	v_mul_f32_e32 v136, v62, v248                              // 00000000C034: 0B11F13E
	v_mul_f32_e32 v137, v62, v249                              // 00000000C038: 0B13F33E
	v_mul_f32_e32 v138, v62, v250                              // 00000000C03C: 0B15F53E
	v_mul_f32_e32 v139, v62, v251                              // 00000000C040: 0B17F73E
	v_mul_f32_e32 v140, v62, v252                              // 00000000C044: 0B19F93E
	v_mul_f32_e32 v141, v62, v253                              // 00000000C048: 0B1BFB3E
	v_mul_f32_e32 v142, v62, v254                              // 00000000C04C: 0B1DFD3E
	v_mul_f32_e32 v143, v62, v255                              // 00000000C050: 0B1FFF3E
	v_cvt_i32_f32_e32 v128, v128                               // 00000000C054: 7F001180
	v_cvt_i32_f32_e32 v129, v129                               // 00000000C058: 7F021181
	v_cvt_i32_f32_e32 v130, v130                               // 00000000C05C: 7F041182
	v_cvt_i32_f32_e32 v131, v131                               // 00000000C060: 7F061183
	v_cvt_i32_f32_e32 v132, v132                               // 00000000C064: 7F081184
	v_cvt_i32_f32_e32 v133, v133                               // 00000000C068: 7F0A1185
	v_cvt_i32_f32_e32 v134, v134                               // 00000000C06C: 7F0C1186
	v_cvt_i32_f32_e32 v135, v135                               // 00000000C070: 7F0E1187
	v_cvt_i32_f32_e32 v136, v136                               // 00000000C074: 7F101188
	v_cvt_i32_f32_e32 v137, v137                               // 00000000C078: 7F121189
	v_cvt_i32_f32_e32 v138, v138                               // 00000000C07C: 7F14118A
	v_cvt_i32_f32_e32 v139, v139                               // 00000000C080: 7F16118B
	v_cvt_i32_f32_e32 v140, v140                               // 00000000C084: 7F18118C
	v_cvt_i32_f32_e32 v141, v141                               // 00000000C088: 7F1A118D
	v_cvt_i32_f32_e32 v142, v142                               // 00000000C08C: 7F1C118E
	v_cvt_i32_f32_e32 v143, v143                               // 00000000C090: 7F1E118F
	v_perm_b32 v128, v129, v128, s53                           // 00000000C094: D1ED0080 00D70181
	v_perm_b32 v128, v130, v128, s54                           // 00000000C09C: D1ED0080 00DB0182
	v_perm_b32 v128, v131, v128, s55                           // 00000000C0A4: D1ED0080 00DF0183
	v_perm_b32 v129, v133, v132, s53                           // 00000000C0AC: D1ED0081 00D70985
	v_perm_b32 v129, v134, v129, s54                           // 00000000C0B4: D1ED0081 00DB0386
	v_perm_b32 v129, v135, v129, s55                           // 00000000C0BC: D1ED0081 00DF0387
	v_perm_b32 v130, v137, v136, s53                           // 00000000C0C4: D1ED0082 00D71189
	v_perm_b32 v130, v138, v130, s54                           // 00000000C0CC: D1ED0082 00DB058A
	v_perm_b32 v130, v139, v130, s55                           // 00000000C0D4: D1ED0082 00DF058B
	v_perm_b32 v131, v141, v140, s53                           // 00000000C0DC: D1ED0083 00D7198D
	v_perm_b32 v131, v142, v131, s54                           // 00000000C0E4: D1ED0083 00DB078E
	v_perm_b32 v131, v143, v131, s55                           // 00000000C0EC: D1ED0083 00DF078F
	ds_write_b32 v13, v128 offset:25088                        // 00000000C0F4: D81A6200 0000800D
	ds_write_b32 v13, v129 offset:26112                        // 00000000C0FC: D81A6600 0000810D
	ds_write_b32 v13, v130 offset:27136                        // 00000000C104: D81A6A00 0000820D
	ds_write_b32 v13, v131 offset:28160                        // 00000000C10C: D81A6E00 0000830D
	v_add_f32_e32 v224, v224, v192                             // 00000000C114: 03C181E0
	v_add_f32_e32 v225, v225, v193                             // 00000000C118: 03C383E1
	v_add_f32_e32 v226, v226, v194                             // 00000000C11C: 03C585E2
	v_add_f32_e32 v227, v227, v195                             // 00000000C120: 03C787E3
	v_add_f32_e32 v228, v228, v196                             // 00000000C124: 03C989E4
	v_add_f32_e32 v229, v229, v197                             // 00000000C128: 03CB8BE5
	v_add_f32_e32 v230, v230, v198                             // 00000000C12C: 03CD8DE6
	v_add_f32_e32 v231, v231, v199                             // 00000000C130: 03CF8FE7
	v_rcp_f32_e32 v58, v62                                     // 00000000C134: 7E74453E
	s_waitcnt lgkmcnt(0)                                       // 00000000C138: BF8CC07F
	s_barrier                                                  // 00000000C13C: BF8A0000
	ds_read_b64 v[128:129], v12 offset:25088                   // 00000000C140: D8EC6200 8000000C
	ds_read_b64 v[130:131], v12 offset:25216                   // 00000000C148: D8EC6280 8200000C
	ds_read_b64 v[132:133], v12 offset:26112                   // 00000000C150: D8EC6600 8400000C
	ds_read_b64 v[134:135], v12 offset:26240                   // 00000000C158: D8EC6680 8600000C
	ds_read_b64 v[136:137], v12 offset:27136                   // 00000000C160: D8EC6A00 8800000C
	ds_read_b64 v[138:139], v12 offset:27264                   // 00000000C168: D8EC6A80 8A00000C
	ds_read_b64 v[140:141], v12 offset:28160                   // 00000000C170: D8EC6E00 8C00000C
	ds_read_b64 v[142:143], v12 offset:28288                   // 00000000C178: D8EC6E80 8E00000C
	v_mov_b32_dpp v41, v52 row_shr:4 row_mask:0xf bank_mask:0xf// 00000000C180: 7E5202FA FF011434
	v_mov_b32_dpp v42, v52 row_shl:4 row_mask:0xf bank_mask:0xf// 00000000C188: 7E5402FA FF010434
	v_cndmask_b32_e64 v248, v52, v41, s[44:45]                 // 00000000C190: D10000F8 00B25334
	v_cndmask_b32_e64 v249, v42, v52, s[44:45]                 // 00000000C198: D10000F9 00B2692A
	v_mov_b32_dpp v41, v248 row_shr:8 row_mask:0xf bank_mask:0xf// 00000000C1A0: 7E5202FA FF0118F8
	v_mov_b32_dpp v42, v248 row_shl:8 row_mask:0xf bank_mask:0xf// 00000000C1A8: 7E5402FA FF0108F8
	v_mov_b32_dpp v43, v249 row_shr:8 row_mask:0xf bank_mask:0xf// 00000000C1B0: 7E5602FA FF0118F9
	v_mov_b32_dpp v44, v249 row_shl:8 row_mask:0xf bank_mask:0xf// 00000000C1B8: 7E5802FA FF0108F9
	v_mov_b32_e32 v45, v248                                    // 00000000C1C0: 7E5A03F8
	v_mov_b32_e32 v46, v249                                    // 00000000C1C4: 7E5C03F9
	v_cndmask_b32_e64 v248, v45, v41, s[42:43]                 // 00000000C1C8: D10000F8 00AA532D
	v_cndmask_b32_e64 v250, v45, v42, s[78:79]                 // 00000000C1D0: D10000FA 013A552D
	v_cndmask_b32_e64 v249, v46, v43, s[42:43]                 // 00000000C1D8: D10000F9 00AA572E
	v_cndmask_b32_e64 v251, v46, v44, s[78:79]                 // 00000000C1E0: D10000FB 013A592E
	v_mov_b32_dpp v41, v72 row_shr:4 row_mask:0xf bank_mask:0xf// 00000000C1E8: 7E5202FA FF011448
	v_mov_b32_dpp v42, v72 row_shl:4 row_mask:0xf bank_mask:0xf// 00000000C1F0: 7E5402FA FF010448
	v_cndmask_b32_e64 v252, v72, v41, s[44:45]                 // 00000000C1F8: D10000FC 00B25348
	v_cndmask_b32_e64 v253, v42, v72, s[44:45]                 // 00000000C200: D10000FD 00B2912A
	v_mov_b32_dpp v41, v252 row_shr:8 row_mask:0xf bank_mask:0xf// 00000000C208: 7E5202FA FF0118FC
	v_mov_b32_dpp v42, v252 row_shl:8 row_mask:0xf bank_mask:0xf// 00000000C210: 7E5402FA FF0108FC
	v_mov_b32_dpp v43, v253 row_shr:8 row_mask:0xf bank_mask:0xf// 00000000C218: 7E5602FA FF0118FD
	v_mov_b32_dpp v44, v253 row_shl:8 row_mask:0xf bank_mask:0xf// 00000000C220: 7E5802FA FF0108FD
	v_mov_b32_e32 v45, v252                                    // 00000000C228: 7E5A03FC
	v_mov_b32_e32 v46, v253                                    // 00000000C22C: 7E5C03FD
	v_cndmask_b32_e64 v252, v45, v41, s[42:43]                 // 00000000C230: D10000FC 00AA532D
	v_cndmask_b32_e64 v254, v45, v42, s[78:79]                 // 00000000C238: D10000FE 013A552D
	v_cndmask_b32_e64 v253, v46, v43, s[42:43]                 // 00000000C240: D10000FD 00AA572E
	v_cndmask_b32_e64 v255, v46, v44, s[78:79]                 // 00000000C248: D10000FF 013A592E
	v_cvt_f32_i32_e32 v144, v144                               // 00000000C250: 7F200B90
	v_cvt_f32_i32_e32 v145, v145                               // 00000000C254: 7F220B91
	v_cvt_f32_i32_e32 v146, v146                               // 00000000C258: 7F240B92
	v_cvt_f32_i32_e32 v147, v147                               // 00000000C25C: 7F260B93
	v_cvt_f32_i32_e32 v148, v148                               // 00000000C260: 7F280B94
	v_cvt_f32_i32_e32 v149, v149                               // 00000000C264: 7F2A0B95
	v_cvt_f32_i32_e32 v150, v150                               // 00000000C268: 7F2C0B96
	v_cvt_f32_i32_e32 v151, v151                               // 00000000C26C: 7F2E0B97
	v_cvt_f32_i32_e32 v152, v152                               // 00000000C270: 7F300B98
	v_cvt_f32_i32_e32 v153, v153                               // 00000000C274: 7F320B99
	v_cvt_f32_i32_e32 v154, v154                               // 00000000C278: 7F340B9A
	v_cvt_f32_i32_e32 v155, v155                               // 00000000C27C: 7F360B9B
	v_cvt_f32_i32_e32 v156, v156                               // 00000000C280: 7F380B9C
	v_cvt_f32_i32_e32 v157, v157                               // 00000000C284: 7F3A0B9D
	v_cvt_f32_i32_e32 v158, v158                               // 00000000C288: 7F3C0B9E
	v_cvt_f32_i32_e32 v159, v159                               // 00000000C28C: 7F3E0B9F
	v_mul_f32_e32 v144, v55, v144                              // 00000000C290: 0B212137
	v_mul_f32_e32 v145, v55, v145                              // 00000000C294: 0B232337
	v_mul_f32_e32 v146, v55, v146                              // 00000000C298: 0B252537
	v_mul_f32_e32 v147, v55, v147                              // 00000000C29C: 0B272737
	v_mul_f32_e32 v148, v55, v148                              // 00000000C2A0: 0B292937
	v_mul_f32_e32 v149, v55, v149                              // 00000000C2A4: 0B2B2B37
	v_mul_f32_e32 v150, v55, v150                              // 00000000C2A8: 0B2D2D37
	v_mul_f32_e32 v151, v55, v151                              // 00000000C2AC: 0B2F2F37
	v_mul_f32_e32 v152, v55, v152                              // 00000000C2B0: 0B313137
	v_mul_f32_e32 v153, v55, v153                              // 00000000C2B4: 0B333337
	v_mul_f32_e32 v154, v55, v154                              // 00000000C2B8: 0B353537
	v_mul_f32_e32 v155, v55, v155                              // 00000000C2BC: 0B373737
	v_mul_f32_e32 v156, v55, v156                              // 00000000C2C0: 0B393937
	v_mul_f32_e32 v157, v55, v157                              // 00000000C2C4: 0B3B3B37
	v_mul_f32_e32 v158, v55, v158                              // 00000000C2C8: 0B3D3D37
	v_mul_f32_e32 v159, v55, v159                              // 00000000C2CC: 0B3F3F37
	v_mul_f32_dpp v144, v248, v144 quad_perm:[0,0,0,0] row_mask:0xf bank_mask:0xf// 00000000C2D0: 0B2120FA FF0000F8
	v_mul_f32_dpp v145, v248, v145 quad_perm:[1,1,1,1] row_mask:0xf bank_mask:0xf// 00000000C2D8: 0B2322FA FF0055F8
	v_mul_f32_dpp v146, v248, v146 quad_perm:[2,2,2,2] row_mask:0xf bank_mask:0xf// 00000000C2E0: 0B2524FA FF00AAF8
	v_mul_f32_dpp v147, v248, v147 quad_perm:[3,3,3,3] row_mask:0xf bank_mask:0xf// 00000000C2E8: 0B2726FA FF00FFF8
	v_mul_f32_dpp v148, v249, v148 quad_perm:[0,0,0,0] row_mask:0xf bank_mask:0xf// 00000000C2F0: 0B2928FA FF0000F9
	v_mul_f32_dpp v149, v249, v149 quad_perm:[1,1,1,1] row_mask:0xf bank_mask:0xf// 00000000C2F8: 0B2B2AFA FF0055F9
	v_mul_f32_dpp v150, v249, v150 quad_perm:[2,2,2,2] row_mask:0xf bank_mask:0xf// 00000000C300: 0B2D2CFA FF00AAF9
	v_mul_f32_dpp v151, v249, v151 quad_perm:[3,3,3,3] row_mask:0xf bank_mask:0xf// 00000000C308: 0B2F2EFA FF00FFF9
	v_mul_f32_dpp v152, v250, v152 quad_perm:[0,0,0,0] row_mask:0xf bank_mask:0xf// 00000000C310: 0B3130FA FF0000FA
	v_mul_f32_dpp v153, v250, v153 quad_perm:[1,1,1,1] row_mask:0xf bank_mask:0xf// 00000000C318: 0B3332FA FF0055FA
	v_mul_f32_dpp v154, v250, v154 quad_perm:[2,2,2,2] row_mask:0xf bank_mask:0xf// 00000000C320: 0B3534FA FF00AAFA
	v_mul_f32_dpp v155, v250, v155 quad_perm:[3,3,3,3] row_mask:0xf bank_mask:0xf// 00000000C328: 0B3736FA FF00FFFA
	v_mul_f32_dpp v156, v251, v156 quad_perm:[0,0,0,0] row_mask:0xf bank_mask:0xf// 00000000C330: 0B3938FA FF0000FB
	v_mul_f32_dpp v157, v251, v157 quad_perm:[1,1,1,1] row_mask:0xf bank_mask:0xf// 00000000C338: 0B3B3AFA FF0055FB
	v_mul_f32_dpp v158, v251, v158 quad_perm:[2,2,2,2] row_mask:0xf bank_mask:0xf// 00000000C340: 0B3D3CFA FF00AAFB
	v_mul_f32_dpp v159, v251, v159 quad_perm:[3,3,3,3] row_mask:0xf bank_mask:0xf// 00000000C348: 0B3F3EFA FF00FFFB
	s_cmp_le_i32 s90, s89                                      // 00000000C350: BF05595A
	s_cbranch_scc1 label_28C9                                  // 00000000C354: BF850073
	v_mov_b32_e32 v69, 0xff800000                              // 00000000C358: 7E8A02FF FF800000
	s_mov_b32 s60, s90                                         // 00000000C360: BEBC005A
	s_add_u32 s61, s89, 0xff                                   // 00000000C364: 803DFF59 000000FF
	v_mov_b32_e32 v41, s61                                     // 00000000C36C: 7E52023D
	v_lshrrev_b32_e32 v240, 4, v0                              // 00000000C370: 21E00084
	v_mul_i32_i24_e32 v240, 4, v240                            // 00000000C374: 0DE1E084
	v_add_u32_e32 v240, s60, v240                              // 00000000C378: 69E1E03C
	v_and_b32_e32 v42, 15, v0                                  // 00000000C37C: 2654008F
	v_lshrrev_b32_e32 v42, 3, v42                              // 00000000C380: 20545483
	s_mov_b32 s61, 2                                           // 00000000C384: BEBD0082
	s_mul_i32 s60, 16, s7                                      // 00000000C388: 923C0790
	v_add_u32_e32 v42, s61, v42                                // 00000000C38C: 6854543D
	v_sub_u32_e32 v240, v240, v42                              // 00000000C390: 6BE055F0
	v_add_u32_e32 v240, s60, v240                              // 00000000C394: 69E1E03C
	v_add_u32_e32 v241, 1, v240                                // 00000000C398: 69E3E081
	v_add_u32_e32 v242, 2, v240                                // 00000000C39C: 69E5E082
	v_add_u32_e32 v243, 3, v240                                // 00000000C3A0: 69E7E083
	v_cmp_le_u32_e64 s[40:41], v240, v41                       // 00000000C3A4: D0CB0028 000253F0
	v_add_u32_e32 v240, 64, v240                               // 00000000C3AC: 69E1E0C0
	s_nop 0                                                    // 00000000C3B0: BF800000
	v_cndmask_b32_e64 v144, v69, v144, s[40:41]                // 00000000C3B4: D1000090 00A32145
	v_cmp_le_u32_e64 s[40:41], v241, v41                       // 00000000C3BC: D0CB0028 000253F1
	v_add_u32_e32 v241, 64, v241                               // 00000000C3C4: 69E3E2C0
	s_nop 0                                                    // 00000000C3C8: BF800000
	v_cndmask_b32_e64 v145, v69, v145, s[40:41]                // 00000000C3CC: D1000091 00A32345
	v_cmp_le_u32_e64 s[40:41], v242, v41                       // 00000000C3D4: D0CB0028 000253F2
	v_add_u32_e32 v242, 64, v242                               // 00000000C3DC: 69E5E4C0
	s_nop 0                                                    // 00000000C3E0: BF800000
	v_cndmask_b32_e64 v146, v69, v146, s[40:41]                // 00000000C3E4: D1000092 00A32545
	v_cmp_le_u32_e64 s[40:41], v243, v41                       // 00000000C3EC: D0CB0028 000253F3
	v_add_u32_e32 v243, 64, v243                               // 00000000C3F4: 69E7E6C0
	s_nop 0                                                    // 00000000C3F8: BF800000
	v_cndmask_b32_e64 v147, v69, v147, s[40:41]                // 00000000C3FC: D1000093 00A32745
	v_cmp_le_u32_e64 s[40:41], v240, v41                       // 00000000C404: D0CB0028 000253F0
	v_add_u32_e32 v240, 64, v240                               // 00000000C40C: 69E1E0C0
	s_nop 0                                                    // 00000000C410: BF800000
	v_cndmask_b32_e64 v148, v69, v148, s[40:41]                // 00000000C414: D1000094 00A32945
	v_cmp_le_u32_e64 s[40:41], v241, v41                       // 00000000C41C: D0CB0028 000253F1
	v_add_u32_e32 v241, 64, v241                               // 00000000C424: 69E3E2C0
	s_nop 0                                                    // 00000000C428: BF800000
	v_cndmask_b32_e64 v149, v69, v149, s[40:41]                // 00000000C42C: D1000095 00A32B45
	v_cmp_le_u32_e64 s[40:41], v242, v41                       // 00000000C434: D0CB0028 000253F2
	v_add_u32_e32 v242, 64, v242                               // 00000000C43C: 69E5E4C0
	s_nop 0                                                    // 00000000C440: BF800000
	v_cndmask_b32_e64 v150, v69, v150, s[40:41]                // 00000000C444: D1000096 00A32D45
	v_cmp_le_u32_e64 s[40:41], v243, v41                       // 00000000C44C: D0CB0028 000253F3
	v_add_u32_e32 v243, 64, v243                               // 00000000C454: 69E7E6C0
	s_nop 0                                                    // 00000000C458: BF800000
	v_cndmask_b32_e64 v151, v69, v151, s[40:41]                // 00000000C45C: D1000097 00A32F45
	v_cmp_le_u32_e64 s[40:41], v240, v41                       // 00000000C464: D0CB0028 000253F0
	v_add_u32_e32 v240, 64, v240                               // 00000000C46C: 69E1E0C0
	s_nop 0                                                    // 00000000C470: BF800000
	v_cndmask_b32_e64 v152, v69, v152, s[40:41]                // 00000000C474: D1000098 00A33145
	v_cmp_le_u32_e64 s[40:41], v241, v41                       // 00000000C47C: D0CB0028 000253F1
	v_add_u32_e32 v241, 64, v241                               // 00000000C484: 69E3E2C0
	s_nop 0                                                    // 00000000C488: BF800000
	v_cndmask_b32_e64 v153, v69, v153, s[40:41]                // 00000000C48C: D1000099 00A33345
	v_cmp_le_u32_e64 s[40:41], v242, v41                       // 00000000C494: D0CB0028 000253F2
	v_add_u32_e32 v242, 64, v242                               // 00000000C49C: 69E5E4C0
	s_nop 0                                                    // 00000000C4A0: BF800000
	v_cndmask_b32_e64 v154, v69, v154, s[40:41]                // 00000000C4A4: D100009A 00A33545
	v_cmp_le_u32_e64 s[40:41], v243, v41                       // 00000000C4AC: D0CB0028 000253F3
	v_add_u32_e32 v243, 64, v243                               // 00000000C4B4: 69E7E6C0
	s_nop 0                                                    // 00000000C4B8: BF800000
	v_cndmask_b32_e64 v155, v69, v155, s[40:41]                // 00000000C4BC: D100009B 00A33745
	v_cmp_le_u32_e64 s[40:41], v240, v41                       // 00000000C4C4: D0CB0028 000253F0
	v_add_u32_e32 v240, 64, v240                               // 00000000C4CC: 69E1E0C0
	s_nop 0                                                    // 00000000C4D0: BF800000
	v_cndmask_b32_e64 v156, v69, v156, s[40:41]                // 00000000C4D4: D100009C 00A33945
	v_cmp_le_u32_e64 s[40:41], v241, v41                       // 00000000C4DC: D0CB0028 000253F1
	v_add_u32_e32 v241, 64, v241                               // 00000000C4E4: 69E3E2C0
	s_nop 0                                                    // 00000000C4E8: BF800000
	v_cndmask_b32_e64 v157, v69, v157, s[40:41]                // 00000000C4EC: D100009D 00A33B45
	v_cmp_le_u32_e64 s[40:41], v242, v41                       // 00000000C4F4: D0CB0028 000253F2
	v_add_u32_e32 v242, 64, v242                               // 00000000C4FC: 69E5E4C0
	s_nop 0                                                    // 00000000C500: BF800000
	v_cndmask_b32_e64 v158, v69, v158, s[40:41]                // 00000000C504: D100009E 00A33D45
	v_cmp_le_u32_e64 s[40:41], v243, v41                       // 00000000C50C: D0CB0028 000253F3
	v_add_u32_e32 v243, 64, v243                               // 00000000C514: 69E7E6C0
	s_nop 0                                                    // 00000000C518: BF800000
	v_cndmask_b32_e64 v159, v69, v159, s[40:41]                // 00000000C51C: D100009F 00A33F45

000000000000c524 <label_28C9>:
	s_add_u32 s90, s91, s90                                    // 00000000C524: 805A5A5B
	v_mov_b32_e32 v62, v144                                    // 00000000C528: 7E7C0390
	v_max3_f32 v62, v144, v145, v62                            // 00000000C52C: D1D3003E 04FB2390
	v_max3_f32 v62, v146, v147, v62                            // 00000000C534: D1D3003E 04FB2792
	v_max3_f32 v62, v148, v149, v62                            // 00000000C53C: D1D3003E 04FB2B94
	v_max3_f32 v62, v150, v151, v62                            // 00000000C544: D1D3003E 04FB2F96
	v_max3_f32 v62, v152, v153, v62                            // 00000000C54C: D1D3003E 04FB3398
	v_max3_f32 v62, v154, v155, v62                            // 00000000C554: D1D3003E 04FB379A
	v_max3_f32 v62, v156, v157, v62                            // 00000000C55C: D1D3003E 04FB3B9C
	v_max3_f32 v62, v158, v159, v62                            // 00000000C564: D1D3003E 04FB3F9E
	ds_write_b32 v11, v62 offset:16896                         // 00000000C56C: D81A4200 00003E0B
	v_mul_f32_e32 v232, v64, v232                              // 00000000C574: 0BD1D140
	v_mul_f32_e32 v233, v64, v233                              // 00000000C578: 0BD3D340
	v_mul_f32_e32 v234, v64, v234                              // 00000000C57C: 0BD5D540
	v_mul_f32_e32 v235, v64, v235                              // 00000000C580: 0BD7D740
	v_mul_f32_e32 v236, v64, v236                              // 00000000C584: 0BD9D940
	v_mul_f32_e32 v237, v64, v237                              // 00000000C588: 0BDBDB40
	v_mul_f32_e32 v238, v64, v238                              // 00000000C58C: 0BDDDD40
	v_mul_f32_e32 v239, v64, v239                              // 00000000C590: 0BDFDF40
	s_waitcnt lgkmcnt(0)                                       // 00000000C594: BF8CC07F
	s_barrier                                                  // 00000000C598: BF8A0000
	ds_read_b32 v80, v10 offset:16896                          // 00000000C59C: D86C4200 5000000A
	ds_read_b32 v81, v10 offset:16960                          // 00000000C5A4: D86C4240 5100000A
	ds_read_b32 v82, v10 offset:17024                          // 00000000C5AC: D86C4280 5200000A
	ds_read_b32 v83, v10 offset:17088                          // 00000000C5B4: D86C42C0 5300000A
	ds_read_b32 v84, v10 offset:17152                          // 00000000C5BC: D86C4300 5400000A
	ds_read_b32 v85, v10 offset:17216                          // 00000000C5C4: D86C4340 5500000A
	ds_read_b32 v86, v10 offset:17280                          // 00000000C5CC: D86C4380 5600000A
	ds_read_b32 v87, v10 offset:17344                          // 00000000C5D4: D86C43C0 5700000A
	ds_read_b32 v88, v10 offset:17408                          // 00000000C5DC: D86C4400 5800000A
	ds_read_b32 v89, v10 offset:17472                          // 00000000C5E4: D86C4440 5900000A
	ds_read_b32 v90, v10 offset:17536                          // 00000000C5EC: D86C4480 5A00000A
	ds_read_b32 v91, v10 offset:17600                          // 00000000C5F4: D86C44C0 5B00000A
	ds_read_b32 v92, v10 offset:17664                          // 00000000C5FC: D86C4500 5C00000A
	ds_read_b32 v93, v10 offset:17728                          // 00000000C604: D86C4540 5D00000A
	ds_read_b32 v94, v10 offset:17792                          // 00000000C60C: D86C4580 5E00000A
	ds_read_b32 v95, v10 offset:17856                          // 00000000C614: D86C45C0 5F00000A
	v_cvt_f32_i32_e32 v200, v200                               // 00000000C61C: 7F900BC8
	v_cvt_f32_i32_e32 v201, v201                               // 00000000C620: 7F920BC9
	v_cvt_f32_i32_e32 v202, v202                               // 00000000C624: 7F940BCA
	v_cvt_f32_i32_e32 v203, v203                               // 00000000C628: 7F960BCB
	v_cvt_f32_i32_e32 v204, v204                               // 00000000C62C: 7F980BCC
	v_cvt_f32_i32_e32 v205, v205                               // 00000000C630: 7F9A0BCD
	v_cvt_f32_i32_e32 v206, v206                               // 00000000C634: 7F9C0BCE
	v_cvt_f32_i32_e32 v207, v207                               // 00000000C638: 7F9E0BCF
	v_mul_f32_e32 v200, v59, v200                              // 00000000C63C: 0B91913B
	v_mul_f32_e32 v201, v59, v201                              // 00000000C640: 0B93933B
	v_mul_f32_e32 v202, v59, v202                              // 00000000C644: 0B95953B
	v_mul_f32_e32 v203, v59, v203                              // 00000000C648: 0B97973B
	v_mul_f32_e32 v204, v59, v204                              // 00000000C64C: 0B99993B
	v_mul_f32_e32 v205, v59, v205                              // 00000000C650: 0B9B9B3B
	v_mul_f32_e32 v206, v59, v206                              // 00000000C654: 0B9D9D3B
	v_mul_f32_e32 v207, v59, v207                              // 00000000C658: 0B9F9F3B
	s_waitcnt lgkmcnt(0)                                       // 00000000C65C: BF8CC07F
	v_max3_f32 v62, v80, v81, v62                              // 00000000C660: D1D3003E 04FAA350
	v_max3_f32 v62, v82, v83, v62                              // 00000000C668: D1D3003E 04FAA752
	v_max3_f32 v62, v84, v85, v62                              // 00000000C670: D1D3003E 04FAAB54
	v_max3_f32 v62, v86, v87, v62                              // 00000000C678: D1D3003E 04FAAF56
	v_max3_f32 v62, v88, v89, v62                              // 00000000C680: D1D3003E 04FAB358
	v_max3_f32 v62, v90, v91, v62                              // 00000000C688: D1D3003E 04FAB75A
	v_max3_f32 v62, v92, v93, v62                              // 00000000C690: D1D3003E 04FABB5C
	v_max3_f32 v62, v94, v95, v62                              // 00000000C698: D1D3003E 04FABF5E
	v_mov_b32_e32 v41, 0xff800000                              // 00000000C6A0: 7E5202FF FF800000
	v_cmp_eq_u32_e64 s[40:41], v41, v15                        // 00000000C6A8: D0CA0028 00021F29
	s_nop 1                                                    // 00000000C6B0: BF800001
	v_max_f32_e32 v18, v62, v15                                // 00000000C6B4: 16241F3E
	v_mul_f32_e32 v67, s64, v18                                // 00000000C6B8: 0A862440
	v_fma_f32 v144, v144, s64, -v67                            // 00000000C6BC: D1CB0090 850C8190
	v_fma_f32 v145, v145, s64, -v67                            // 00000000C6C4: D1CB0091 850C8191
	v_fma_f32 v146, v146, s64, -v67                            // 00000000C6CC: D1CB0092 850C8192
	v_fma_f32 v147, v147, s64, -v67                            // 00000000C6D4: D1CB0093 850C8193
	v_fma_f32 v148, v148, s64, -v67                            // 00000000C6DC: D1CB0094 850C8194
	v_fma_f32 v149, v149, s64, -v67                            // 00000000C6E4: D1CB0095 850C8195
	v_fma_f32 v150, v150, s64, -v67                            // 00000000C6EC: D1CB0096 850C8196
	v_fma_f32 v151, v151, s64, -v67                            // 00000000C6F4: D1CB0097 850C8197
	v_fma_f32 v152, v152, s64, -v67                            // 00000000C6FC: D1CB0098 850C8198
	v_fma_f32 v153, v153, s64, -v67                            // 00000000C704: D1CB0099 850C8199
	v_fma_f32 v154, v154, s64, -v67                            // 00000000C70C: D1CB009A 850C819A
	v_fma_f32 v155, v155, s64, -v67                            // 00000000C714: D1CB009B 850C819B
	v_fma_f32 v156, v156, s64, -v67                            // 00000000C71C: D1CB009C 850C819C
	v_fma_f32 v157, v157, s64, -v67                            // 00000000C724: D1CB009D 850C819D
	v_fma_f32 v158, v158, s64, -v67                            // 00000000C72C: D1CB009E 850C819E
	v_fma_f32 v159, v159, s64, -v67                            // 00000000C734: D1CB009F 850C819F
	v_exp_f32_e32 v144, v144                                   // 00000000C73C: 7F204190
	v_exp_f32_e32 v145, v145                                   // 00000000C740: 7F224191
	v_exp_f32_e32 v146, v146                                   // 00000000C744: 7F244192
	v_exp_f32_e32 v147, v147                                   // 00000000C748: 7F264193
	v_exp_f32_e32 v148, v148                                   // 00000000C74C: 7F284194
	v_exp_f32_e32 v149, v149                                   // 00000000C750: 7F2A4195
	v_exp_f32_e32 v150, v150                                   // 00000000C754: 7F2C4196
	v_exp_f32_e32 v151, v151                                   // 00000000C758: 7F2E4197
	v_exp_f32_e32 v152, v152                                   // 00000000C75C: 7F304198
	v_exp_f32_e32 v153, v153                                   // 00000000C760: 7F324199
	v_exp_f32_e32 v154, v154                                   // 00000000C764: 7F34419A
	v_exp_f32_e32 v155, v155                                   // 00000000C768: 7F36419B
	v_exp_f32_e32 v156, v156                                   // 00000000C76C: 7F38419C
	v_exp_f32_e32 v157, v157                                   // 00000000C770: 7F3A419D
	v_exp_f32_e32 v158, v158                                   // 00000000C774: 7F3C419E
	v_exp_f32_e32 v159, v159                                   // 00000000C778: 7F3E419F
	v_mul_f32_dpp v240, v252, v144 quad_perm:[0,0,0,0] row_mask:0xf bank_mask:0xf// 00000000C77C: 0BE120FA FF0000FC
	v_mul_f32_dpp v241, v252, v145 quad_perm:[1,1,1,1] row_mask:0xf bank_mask:0xf// 00000000C784: 0BE322FA FF0055FC
	v_mul_f32_dpp v242, v252, v146 quad_perm:[2,2,2,2] row_mask:0xf bank_mask:0xf// 00000000C78C: 0BE524FA FF00AAFC
	v_mul_f32_dpp v243, v252, v147 quad_perm:[3,3,3,3] row_mask:0xf bank_mask:0xf// 00000000C794: 0BE726FA FF00FFFC
	v_mul_f32_dpp v244, v253, v148 quad_perm:[0,0,0,0] row_mask:0xf bank_mask:0xf// 00000000C79C: 0BE928FA FF0000FD
	v_mul_f32_dpp v245, v253, v149 quad_perm:[1,1,1,1] row_mask:0xf bank_mask:0xf// 00000000C7A4: 0BEB2AFA FF0055FD
	v_mul_f32_dpp v246, v253, v150 quad_perm:[2,2,2,2] row_mask:0xf bank_mask:0xf// 00000000C7AC: 0BED2CFA FF00AAFD
	v_mul_f32_dpp v247, v253, v151 quad_perm:[3,3,3,3] row_mask:0xf bank_mask:0xf// 00000000C7B4: 0BEF2EFA FF00FFFD
	v_mul_f32_dpp v248, v254, v152 quad_perm:[0,0,0,0] row_mask:0xf bank_mask:0xf// 00000000C7BC: 0BF130FA FF0000FE
	v_mul_f32_dpp v249, v254, v153 quad_perm:[1,1,1,1] row_mask:0xf bank_mask:0xf// 00000000C7C4: 0BF332FA FF0055FE
	v_mul_f32_dpp v250, v254, v154 quad_perm:[2,2,2,2] row_mask:0xf bank_mask:0xf// 00000000C7CC: 0BF534FA FF00AAFE
	v_mul_f32_dpp v251, v254, v155 quad_perm:[3,3,3,3] row_mask:0xf bank_mask:0xf// 00000000C7D4: 0BF736FA FF00FFFE
	v_mul_f32_dpp v252, v255, v156 quad_perm:[0,0,0,0] row_mask:0xf bank_mask:0xf// 00000000C7DC: 0BF938FA FF0000FF
	v_mul_f32_dpp v253, v255, v157 quad_perm:[1,1,1,1] row_mask:0xf bank_mask:0xf// 00000000C7E4: 0BFB3AFA FF0055FF
	v_mul_f32_dpp v254, v255, v158 quad_perm:[2,2,2,2] row_mask:0xf bank_mask:0xf// 00000000C7EC: 0BFD3CFA FF00AAFF
	v_mul_f32_dpp v255, v255, v159 quad_perm:[3,3,3,3] row_mask:0xf bank_mask:0xf// 00000000C7F4: 0BFF3EFA FF00FFFF
	v_mov_b32_e32 v62, 0x358637bd                              // 00000000C7FC: 7E7C02FF 358637BD
	v_max3_f32 v62, |v240|, |v241|, v62                        // 00000000C804: D1D3033E 04FBE3F0
	v_max3_f32 v62, |v242|, |v243|, v62                        // 00000000C80C: D1D3033E 04FBE7F2
	v_max3_f32 v62, |v244|, |v245|, v62                        // 00000000C814: D1D3033E 04FBEBF4
	v_max3_f32 v62, |v246|, |v247|, v62                        // 00000000C81C: D1D3033E 04FBEFF6
	v_max3_f32 v62, |v248|, |v249|, v62                        // 00000000C824: D1D3033E 04FBF3F8
	v_max3_f32 v62, |v250|, |v251|, v62                        // 00000000C82C: D1D3033E 04FBF7FA
	v_max3_f32 v62, |v252|, |v253|, v62                        // 00000000C834: D1D3033E 04FBFBFC
	v_max3_f32 v62, |v254|, |v255|, v62                        // 00000000C83C: D1D3033E 04FBFFFE
	ds_write_b32 v11, v62 offset:20992                         // 00000000C844: D81A5200 00003E0B
	v_sub_f32_e32 v64, v15, v18                                // 00000000C84C: 0480250F
	v_cndmask_b32_e64 v64, v64, 0, s[40:41]                    // 00000000C850: D1000040 00A10140
	v_mov_b32_e32 v15, v18                                     // 00000000C858: 7E1E0312
	v_mul_f32_e32 v64, s64, v64                                // 00000000C85C: 0A808040
	v_exp_f32_e32 v64, v64                                     // 00000000C860: 7E804140
	s_waitcnt lgkmcnt(0)                                       // 00000000C864: BF8CC07F
	s_barrier                                                  // 00000000C868: BF8A0000
	ds_read_b32 v80, v10 offset:20992                          // 00000000C86C: D86C5200 5000000A
	ds_read_b32 v81, v10 offset:21056                          // 00000000C874: D86C5240 5100000A
	ds_read_b32 v82, v10 offset:21120                          // 00000000C87C: D86C5280 5200000A
	ds_read_b32 v83, v10 offset:21184                          // 00000000C884: D86C52C0 5300000A
	ds_read_b32 v84, v10 offset:21248                          // 00000000C88C: D86C5300 5400000A
	ds_read_b32 v85, v10 offset:21312                          // 00000000C894: D86C5340 5500000A
	ds_read_b32 v86, v10 offset:21376                          // 00000000C89C: D86C5380 5600000A
	ds_read_b32 v87, v10 offset:21440                          // 00000000C8A4: D86C53C0 5700000A
	ds_read_b32 v88, v10 offset:21504                          // 00000000C8AC: D86C5400 5800000A
	ds_read_b32 v89, v10 offset:21568                          // 00000000C8B4: D86C5440 5900000A
	ds_read_b32 v90, v10 offset:21632                          // 00000000C8BC: D86C5480 5A00000A
	ds_read_b32 v91, v10 offset:21696                          // 00000000C8C4: D86C54C0 5B00000A
	ds_read_b32 v92, v10 offset:21760                          // 00000000C8CC: D86C5500 5C00000A
	ds_read_b32 v93, v10 offset:21824                          // 00000000C8D4: D86C5540 5D00000A
	ds_read_b32 v94, v10 offset:21888                          // 00000000C8DC: D86C5580 5E00000A
	ds_read_b32 v95, v10 offset:21952                          // 00000000C8E4: D86C55C0 5F00000A
	v_mul_f32_e32 v48, v64, v48                                // 00000000C8EC: 0A606140
	v_mov_b32_e32 v18, v144                                    // 00000000C8F0: 7E240390
	v_add_f32_e32 v18, v145, v18                               // 00000000C8F4: 02242591
	v_add_f32_e32 v18, v146, v18                               // 00000000C8F8: 02242592
	v_add_f32_e32 v18, v147, v18                               // 00000000C8FC: 02242593
	v_add_f32_e32 v18, v148, v18                               // 00000000C900: 02242594
	v_add_f32_e32 v18, v149, v18                               // 00000000C904: 02242595
	v_add_f32_e32 v18, v150, v18                               // 00000000C908: 02242596
	v_add_f32_e32 v18, v151, v18                               // 00000000C90C: 02242597
	v_add_f32_e32 v18, v152, v18                               // 00000000C910: 02242598
	v_add_f32_e32 v18, v153, v18                               // 00000000C914: 02242599
	v_add_f32_e32 v18, v154, v18                               // 00000000C918: 0224259A
	v_add_f32_e32 v18, v155, v18                               // 00000000C91C: 0224259B
	v_add_f32_e32 v18, v156, v18                               // 00000000C920: 0224259C
	v_add_f32_e32 v18, v157, v18                               // 00000000C924: 0224259D
	v_add_f32_e32 v18, v158, v18                               // 00000000C928: 0224259E
	v_add_f32_e32 v18, v159, v18                               // 00000000C92C: 0224259F
	v_add_f32_e32 v48, v18, v48                                // 00000000C930: 02606112
	s_waitcnt lgkmcnt(0)                                       // 00000000C934: BF8CC07F
	v_max3_f32 v62, |v80|, |v81|, v62                          // 00000000C938: D1D3033E 04FAA350
	v_max3_f32 v62, |v82|, |v83|, v62                          // 00000000C940: D1D3033E 04FAA752
	v_max3_f32 v62, |v84|, |v85|, v62                          // 00000000C948: D1D3033E 04FAAB54
	v_max3_f32 v62, |v86|, |v87|, v62                          // 00000000C950: D1D3033E 04FAAF56
	v_max3_f32 v62, |v88|, |v89|, v62                          // 00000000C958: D1D3033E 04FAB358
	v_max3_f32 v62, |v90|, |v91|, v62                          // 00000000C960: D1D3033E 04FAB75A
	v_max3_f32 v62, |v92|, |v93|, v62                          // 00000000C968: D1D3033E 04FABB5C
	v_max3_f32 v62, |v94|, |v95|, v62                          // 00000000C970: D1D3033E 04FABF5E
	s_nop 2                                                    // 00000000C978: BF800002
	v_rcp_f32_e32 v62, v62                                     // 00000000C97C: 7E7C453E
	s_nop 1                                                    // 00000000C980: BF800001
	v_mul_f32_e32 v62, 0x42fe0000, v62                         // 00000000C984: 0A7C7CFF 42FE0000
	v_mul_f32_e32 v144, v62, v240                              // 00000000C98C: 0B21E13E
	v_mul_f32_e32 v145, v62, v241                              // 00000000C990: 0B23E33E
	v_mul_f32_e32 v146, v62, v242                              // 00000000C994: 0B25E53E
	v_mul_f32_e32 v147, v62, v243                              // 00000000C998: 0B27E73E
	v_mul_f32_e32 v148, v62, v244                              // 00000000C99C: 0B29E93E
	v_mul_f32_e32 v149, v62, v245                              // 00000000C9A0: 0B2BEB3E
	v_mul_f32_e32 v150, v62, v246                              // 00000000C9A4: 0B2DED3E
	v_mul_f32_e32 v151, v62, v247                              // 00000000C9A8: 0B2FEF3E
	v_mul_f32_e32 v152, v62, v248                              // 00000000C9AC: 0B31F13E
	v_mul_f32_e32 v153, v62, v249                              // 00000000C9B0: 0B33F33E
	v_mul_f32_e32 v154, v62, v250                              // 00000000C9B4: 0B35F53E
	v_mul_f32_e32 v155, v62, v251                              // 00000000C9B8: 0B37F73E
	v_mul_f32_e32 v156, v62, v252                              // 00000000C9BC: 0B39F93E
	v_mul_f32_e32 v157, v62, v253                              // 00000000C9C0: 0B3BFB3E
	v_mul_f32_e32 v158, v62, v254                              // 00000000C9C4: 0B3DFD3E
	v_mul_f32_e32 v159, v62, v255                              // 00000000C9C8: 0B3FFF3E
	v_cvt_i32_f32_e32 v144, v144                               // 00000000C9CC: 7F201190
	v_cvt_i32_f32_e32 v145, v145                               // 00000000C9D0: 7F221191
	v_cvt_i32_f32_e32 v146, v146                               // 00000000C9D4: 7F241192
	v_cvt_i32_f32_e32 v147, v147                               // 00000000C9D8: 7F261193
	v_cvt_i32_f32_e32 v148, v148                               // 00000000C9DC: 7F281194
	v_cvt_i32_f32_e32 v149, v149                               // 00000000C9E0: 7F2A1195
	v_cvt_i32_f32_e32 v150, v150                               // 00000000C9E4: 7F2C1196
	v_cvt_i32_f32_e32 v151, v151                               // 00000000C9E8: 7F2E1197
	v_cvt_i32_f32_e32 v152, v152                               // 00000000C9EC: 7F301198
	v_cvt_i32_f32_e32 v153, v153                               // 00000000C9F0: 7F321199
	v_cvt_i32_f32_e32 v154, v154                               // 00000000C9F4: 7F34119A
	v_cvt_i32_f32_e32 v155, v155                               // 00000000C9F8: 7F36119B
	v_cvt_i32_f32_e32 v156, v156                               // 00000000C9FC: 7F38119C
	v_cvt_i32_f32_e32 v157, v157                               // 00000000CA00: 7F3A119D
	v_cvt_i32_f32_e32 v158, v158                               // 00000000CA04: 7F3C119E
	v_cvt_i32_f32_e32 v159, v159                               // 00000000CA08: 7F3E119F
	v_perm_b32 v144, v145, v144, s53                           // 00000000CA0C: D1ED0090 00D72191
	v_perm_b32 v144, v146, v144, s54                           // 00000000CA14: D1ED0090 00DB2192
	v_perm_b32 v144, v147, v144, s55                           // 00000000CA1C: D1ED0090 00DF2193
	v_perm_b32 v145, v149, v148, s53                           // 00000000CA24: D1ED0091 00D72995
	v_perm_b32 v145, v150, v145, s54                           // 00000000CA2C: D1ED0091 00DB2396
	v_perm_b32 v145, v151, v145, s55                           // 00000000CA34: D1ED0091 00DF2397
	v_perm_b32 v146, v153, v152, s53                           // 00000000CA3C: D1ED0092 00D73199
	v_perm_b32 v146, v154, v146, s54                           // 00000000CA44: D1ED0092 00DB259A
	v_perm_b32 v146, v155, v146, s55                           // 00000000CA4C: D1ED0092 00DF259B
	v_perm_b32 v147, v157, v156, s53                           // 00000000CA54: D1ED0093 00D7399D
	v_perm_b32 v147, v158, v147, s54                           // 00000000CA5C: D1ED0093 00DB279E
	v_perm_b32 v147, v159, v147, s55                           // 00000000CA64: D1ED0093 00DF279F
	ds_write_b32 v13, v144 offset:29184                        // 00000000CA6C: D81A7200 0000900D
	ds_write_b32 v13, v145 offset:30208                        // 00000000CA74: D81A7600 0000910D
	ds_write_b32 v13, v146 offset:31232                        // 00000000CA7C: D81A7A00 0000920D
	ds_write_b32 v13, v147 offset:32256                        // 00000000CA84: D81A7E00 0000930D
	v_add_f32_e32 v232, v232, v200                             // 00000000CA8C: 03D191E8
	v_add_f32_e32 v233, v233, v201                             // 00000000CA90: 03D393E9
	v_add_f32_e32 v234, v234, v202                             // 00000000CA94: 03D595EA
	v_add_f32_e32 v235, v235, v203                             // 00000000CA98: 03D797EB
	v_add_f32_e32 v236, v236, v204                             // 00000000CA9C: 03D999EC
	v_add_f32_e32 v237, v237, v205                             // 00000000CAA0: 03DB9BED
	v_add_f32_e32 v238, v238, v206                             // 00000000CAA4: 03DD9DEE
	v_add_f32_e32 v239, v239, v207                             // 00000000CAA8: 03DF9FEF
	v_rcp_f32_e32 v59, v62                                     // 00000000CAAC: 7E76453E
	s_waitcnt lgkmcnt(0)                                       // 00000000CAB0: BF8CC07F
	s_barrier                                                  // 00000000CAB4: BF8A0000
	ds_read_b64 v[144:145], v12 offset:29184                   // 00000000CAB8: D8EC7200 9000000C
	ds_read_b64 v[146:147], v12 offset:29312                   // 00000000CAC0: D8EC7280 9200000C
	ds_read_b64 v[148:149], v12 offset:30208                   // 00000000CAC8: D8EC7600 9400000C
	ds_read_b64 v[150:151], v12 offset:30336                   // 00000000CAD0: D8EC7680 9600000C
	ds_read_b64 v[152:153], v12 offset:31232                   // 00000000CAD8: D8EC7A00 9800000C
	ds_read_b64 v[154:155], v12 offset:31360                   // 00000000CAE0: D8EC7A80 9A00000C
	ds_read_b64 v[156:157], v12 offset:32256                   // 00000000CAE8: D8EC7E00 9C00000C
	ds_read_b64 v[158:159], v12 offset:32384                   // 00000000CAF0: D8EC7E80 9E00000C
	s_waitcnt vmcnt(15)                                        // 00000000CAF8: BF8C0F7F
	v_mfma_i32_16x16x32_i8 v[192:195], a[64:65], v[128:129], 0 // 00000000CAFC: D3D700C0 0A030140
	v_mfma_i32_16x16x32_i8 v[192:195], a[66:67], v[130:131], v[192:195]// 00000000CB04: D3D700C0 0F030542
	buffer_load_dwordx4 a[112:115], v37, s[20:23], 0 offen offset:1024// 00000000CB0C: E05C1400 80857025
	v_mfma_i32_16x16x32_i8 v[192:195], a[68:69], v[132:133], v[192:195]// 00000000CB14: D3D700C0 0F030944
	v_mfma_i32_16x16x32_i8 v[192:195], a[70:71], v[134:135], v[192:195]// 00000000CB1C: D3D700C0 0F030D46
	v_mfma_i32_16x16x32_i8 v[192:195], a[72:73], v[136:137], v[192:195]// 00000000CB24: D3D700C0 0F031148
	v_mfma_i32_16x16x32_i8 v[192:195], a[74:75], v[138:139], v[192:195]// 00000000CB2C: D3D700C0 0F03154A
	buffer_load_dwordx4 a[116:119], v38, s[20:23], 0 offen offset:1024// 00000000CB34: E05C1400 80857426
	v_mfma_i32_16x16x32_i8 v[192:195], a[76:77], v[140:141], v[192:195]// 00000000CB3C: D3D700C0 0F03194C
	v_mfma_i32_16x16x32_i8 v[192:195], a[78:79], v[142:143], v[192:195]// 00000000CB44: D3D700C0 0F031D4E
	v_mfma_i32_16x16x32_i8 v[196:199], a[80:81], v[128:129], 0 // 00000000CB4C: D3D700C4 0A030150
	v_mfma_i32_16x16x32_i8 v[196:199], a[82:83], v[130:131], v[196:199]// 00000000CB54: D3D700C4 0F130552
	buffer_load_dwordx4 a[120:123], v39, s[20:23], 0 offen offset:1024// 00000000CB5C: E05C1400 80857827
	v_mfma_i32_16x16x32_i8 v[196:199], a[84:85], v[132:133], v[196:199]// 00000000CB64: D3D700C4 0F130954
	v_mfma_i32_16x16x32_i8 v[196:199], a[86:87], v[134:135], v[196:199]// 00000000CB6C: D3D700C4 0F130D56
	v_mfma_i32_16x16x32_i8 v[196:199], a[88:89], v[136:137], v[196:199]// 00000000CB74: D3D700C4 0F131158
	v_mfma_i32_16x16x32_i8 v[196:199], a[90:91], v[138:139], v[196:199]// 00000000CB7C: D3D700C4 0F13155A
	buffer_load_dwordx4 a[124:127], v40, s[20:23], 0 offen offset:1024// 00000000CB84: E05C1400 80857C28
	v_mfma_i32_16x16x32_i8 v[196:199], a[92:93], v[140:141], v[196:199]// 00000000CB8C: D3D700C4 0F13195C
	s_lshr_b32 s57, s70, 4                                     // 00000000CB94: 8F398446
	s_add_u32 s57, 48, s57                                     // 00000000CB98: 803939B0
	v_mfma_i32_16x16x32_i8 v[196:199], a[94:95], v[142:143], v[196:199]// 00000000CB9C: D3D700C4 0F131D5E
	s_cmp_ge_u32 s57, s73                                      // 00000000CBA4: BF094939
	s_cselect_b32 s56, 0, s56                                  // 00000000CBA8: 85383880
	v_mfma_i32_16x16x32_i8 v[200:203], a[64:65], v[144:145], 0 // 00000000CBAC: D3D700C8 0A032140
	v_mfma_i32_16x16x32_i8 v[200:203], a[66:67], v[146:147], v[200:203]// 00000000CBB4: D3D700C8 0F232542
	v_mfma_i32_16x16x32_i8 v[200:203], a[68:69], v[148:149], v[200:203]// 00000000CBBC: D3D700C8 0F232944
	v_mfma_i32_16x16x32_i8 v[200:203], a[70:71], v[150:151], v[200:203]// 00000000CBC4: D3D700C8 0F232D46
	v_mfma_i32_16x16x32_i8 v[200:203], a[72:73], v[152:153], v[200:203]// 00000000CBCC: D3D700C8 0F233148
	v_mfma_i32_16x16x32_i8 v[200:203], a[74:75], v[154:155], v[200:203]// 00000000CBD4: D3D700C8 0F23354A
	v_mfma_i32_16x16x32_i8 v[200:203], a[76:77], v[156:157], v[200:203]// 00000000CBDC: D3D700C8 0F23394C
	v_mfma_i32_16x16x32_i8 v[200:203], a[78:79], v[158:159], v[200:203]// 00000000CBE4: D3D700C8 0F233D4E
	v_mfma_i32_16x16x32_i8 v[204:207], a[80:81], v[144:145], 0 // 00000000CBEC: D3D700CC 0A032150
	v_mfma_i32_16x16x32_i8 v[204:207], a[82:83], v[146:147], v[204:207]// 00000000CBF4: D3D700CC 0F332552
	v_mfma_i32_16x16x32_i8 v[204:207], a[84:85], v[148:149], v[204:207]// 00000000CBFC: D3D700CC 0F332954
	v_mfma_i32_16x16x32_i8 v[204:207], a[86:87], v[150:151], v[204:207]// 00000000CC04: D3D700CC 0F332D56
	v_mfma_i32_16x16x32_i8 v[204:207], a[88:89], v[152:153], v[204:207]// 00000000CC0C: D3D700CC 0F333158
	v_mfma_i32_16x16x32_i8 v[204:207], a[90:91], v[154:155], v[204:207]// 00000000CC14: D3D700CC 0F33355A
	v_mfma_i32_16x16x32_i8 v[204:207], a[92:93], v[156:157], v[204:207]// 00000000CC1C: D3D700CC 0F33395C
	v_mfma_i32_16x16x32_i8 v[204:207], a[94:95], v[158:159], v[204:207]// 00000000CC24: D3D700CC 0F333D5E
	v_add_u32_e32 v1, s56, v1                                  // 00000000CC2C: 68020238
	s_addk_i32 s70, 0x100                                      // 00000000CC30: B7460100
	s_cmp_lt_i32 s70, s71                                      // 00000000CC34: BF044746
	s_cbranch_scc0 label_3019                                  // 00000000CC38: BF84058A
	s_waitcnt vmcnt(8) lgkmcnt(0)                              // 00000000CC3C: BF8C0078
	v_mul_u32_u24_dpp v41, v19, v68 row_newbcast:0 row_mask:0xf bank_mask:0xf// 00000000CC40: 105288FA FF015013
	v_mul_u32_u24_dpp v42, v19, v68 row_newbcast:4 row_mask:0xf bank_mask:0xf// 00000000CC48: 105488FA FF015413
	v_mul_u32_u24_dpp v43, v19, v68 row_newbcast:8 row_mask:0xf bank_mask:0xf// 00000000CC50: 105688FA FF015813
	v_mul_u32_u24_dpp v44, v19, v68 row_newbcast:12 row_mask:0xf bank_mask:0xf// 00000000CC58: 105888FA FF015C13
	v_add_u32_e32 v25, v41, v6                                 // 00000000CC60: 68320D29
	v_add_u32_e32 v26, v42, v6                                 // 00000000CC64: 68340D2A
	v_add_u32_e32 v27, v43, v6                                 // 00000000CC68: 68360D2B
	v_add_u32_e32 v28, v44, v6                                 // 00000000CC6C: 68380D2C
	v_mul_u32_u24_dpp v41, v19, v78 quad_perm:[0,0,0,0] row_mask:0xf bank_mask:0xf// 00000000CC70: 10529CFA FF000013
	v_add_u32_e32 v2, v41, v74                                 // 00000000CC78: 68049529
	v_mul_u32_u24_dpp v41, v19, v78 quad_perm:[0,0,0,0] row_mask:0xf bank_mask:0xf// 00000000CC7C: 10529CFA FF000013
	v_add_u32_e32 v70, v41, v75                                // 00000000CC84: 688C9729
	v_mfma_i32_16x16x32_i8 v[128:131], a[32:33], v[96:97], 0   // 00000000CC88: D3D70080 0A02C120
	v_mfma_i32_16x16x32_i8 v[128:131], a[34:35], v[98:99], v[128:131]// 00000000CC90: D3D70080 0E02C522
	buffer_load_dwordx4 a[0:3], v25, s[16:19], 0 offen         // 00000000CC98: E05C1000 80840019
	v_mfma_i32_16x16x32_i8 v[128:131], a[36:37], v[100:101], v[128:131]// 00000000CCA0: D3D70080 0E02C924
	v_mfma_i32_16x16x32_i8 v[128:131], a[38:39], v[102:103], v[128:131]// 00000000CCA8: D3D70080 0E02CD26
	buffer_load_dword v20, v1, s[24:27], 0 offen               // 00000000CCB0: E0501000 80061401
	v_mfma_i32_16x16x32_i8 v[132:135], a[40:41], v[96:97], 0   // 00000000CCB8: D3D70084 0A02C128
	v_mfma_i32_16x16x32_i8 v[132:135], a[42:43], v[98:99], v[132:135]// 00000000CCC0: D3D70084 0E12C52A
	buffer_load_dwordx4 a[4:7], v25, s[16:19], 0 offen offset:1024// 00000000CCC8: E05C1400 80840419
	v_mfma_i32_16x16x32_i8 v[132:135], a[44:45], v[100:101], v[132:135]// 00000000CCD0: D3D70084 0E12C92C
	v_mfma_i32_16x16x32_i8 v[132:135], a[46:47], v[102:103], v[132:135]// 00000000CCD8: D3D70084 0E12CD2E
	v_mfma_i32_16x16x32_i8 v[136:139], a[48:49], v[96:97], 0   // 00000000CCE0: D3D70088 0A02C130
	v_mfma_i32_16x16x32_i8 v[136:139], a[50:51], v[98:99], v[136:139]// 00000000CCE8: D3D70088 0E22C532
	buffer_load_dwordx4 a[8:11], v26, s[16:19], 0 offen        // 00000000CCF0: E05C1000 8084081A
	v_mfma_i32_16x16x32_i8 v[136:139], a[52:53], v[100:101], v[136:139]// 00000000CCF8: D3D70088 0E22C934
	v_mfma_i32_16x16x32_i8 v[136:139], a[54:55], v[102:103], v[136:139]// 00000000CD00: D3D70088 0E22CD36
	v_mfma_i32_16x16x32_i8 v[140:143], a[56:57], v[96:97], 0   // 00000000CD08: D3D7008C 0A02C138
	v_mfma_i32_16x16x32_i8 v[140:143], a[58:59], v[98:99], v[140:143]// 00000000CD10: D3D7008C 0E32C53A
	buffer_load_dwordx4 a[12:15], v26, s[16:19], 0 offen offset:1024// 00000000CD18: E05C1400 80840C1A
	v_mfma_i32_16x16x32_i8 v[140:143], a[60:61], v[100:101], v[140:143]// 00000000CD20: D3D7008C 0E32C93C
	v_mfma_i32_16x16x32_i8 v[140:143], a[62:63], v[102:103], v[140:143]// 00000000CD28: D3D7008C 0E32CD3E
	v_mfma_i32_16x16x32_i8 v[144:147], a[32:33], v[104:105], 0 // 00000000CD30: D3D70090 0A02D120
	v_mfma_i32_16x16x32_i8 v[144:147], a[34:35], v[106:107], v[144:147]// 00000000CD38: D3D70090 0E42D522
	v_mfma_i32_16x16x32_i8 v[144:147], a[36:37], v[108:109], v[144:147]// 00000000CD40: D3D70090 0E42D924
	v_mfma_i32_16x16x32_i8 v[144:147], a[38:39], v[110:111], v[144:147]// 00000000CD48: D3D70090 0E42DD26
	v_mfma_i32_16x16x32_i8 v[148:151], a[40:41], v[104:105], 0 // 00000000CD50: D3D70094 0A02D128
	v_mfma_i32_16x16x32_i8 v[148:151], a[42:43], v[106:107], v[148:151]// 00000000CD58: D3D70094 0E52D52A
	v_mfma_i32_16x16x32_i8 v[148:151], a[44:45], v[108:109], v[148:151]// 00000000CD60: D3D70094 0E52D92C
	v_mfma_i32_16x16x32_i8 v[148:151], a[46:47], v[110:111], v[148:151]// 00000000CD68: D3D70094 0E52DD2E
	v_mfma_i32_16x16x32_i8 v[152:155], a[48:49], v[104:105], 0 // 00000000CD70: D3D70098 0A02D130
	v_mfma_i32_16x16x32_i8 v[152:155], a[50:51], v[106:107], v[152:155]// 00000000CD78: D3D70098 0E62D532
	v_mfma_i32_16x16x32_i8 v[152:155], a[52:53], v[108:109], v[152:155]// 00000000CD80: D3D70098 0E62D934
	v_mfma_i32_16x16x32_i8 v[152:155], a[54:55], v[110:111], v[152:155]// 00000000CD88: D3D70098 0E62DD36
	v_mfma_i32_16x16x32_i8 v[156:159], a[56:57], v[104:105], 0 // 00000000CD90: D3D7009C 0A02D138
	v_mfma_i32_16x16x32_i8 v[156:159], a[58:59], v[106:107], v[156:159]// 00000000CD98: D3D7009C 0E72D53A
	v_mfma_i32_16x16x32_i8 v[156:159], a[60:61], v[108:109], v[156:159]// 00000000CDA0: D3D7009C 0E72D93C
	v_mfma_i32_16x16x32_i8 v[156:159], a[62:63], v[110:111], v[156:159]// 00000000CDA8: D3D7009C 0E72DD3E
	buffer_load_dword v52, v2, s[32:35], 0 offen               // 00000000CDB0: E0501000 80083402
	v_mov_b32_dpp v41, v53 row_shr:4 row_mask:0xf bank_mask:0xf// 00000000CDB8: 7E5202FA FF011435
	v_mov_b32_dpp v42, v53 row_shl:4 row_mask:0xf bank_mask:0xf// 00000000CDC0: 7E5402FA FF010435
	v_cndmask_b32_e64 v248, v53, v41, s[44:45]                 // 00000000CDC8: D10000F8 00B25335
	v_cndmask_b32_e64 v249, v42, v53, s[44:45]                 // 00000000CDD0: D10000F9 00B26B2A
	v_mov_b32_dpp v41, v248 row_shr:8 row_mask:0xf bank_mask:0xf// 00000000CDD8: 7E5202FA FF0118F8
	v_mov_b32_dpp v42, v248 row_shl:8 row_mask:0xf bank_mask:0xf// 00000000CDE0: 7E5402FA FF0108F8
	v_mov_b32_dpp v43, v249 row_shr:8 row_mask:0xf bank_mask:0xf// 00000000CDE8: 7E5602FA FF0118F9
	v_mov_b32_dpp v44, v249 row_shl:8 row_mask:0xf bank_mask:0xf// 00000000CDF0: 7E5802FA FF0108F9
	v_mov_b32_e32 v45, v248                                    // 00000000CDF8: 7E5A03F8
	v_mov_b32_e32 v46, v249                                    // 00000000CDFC: 7E5C03F9
	v_cndmask_b32_e64 v248, v45, v41, s[42:43]                 // 00000000CE00: D10000F8 00AA532D
	v_cndmask_b32_e64 v250, v45, v42, s[78:79]                 // 00000000CE08: D10000FA 013A552D
	v_cndmask_b32_e64 v249, v46, v43, s[42:43]                 // 00000000CE10: D10000F9 00AA572E
	v_cndmask_b32_e64 v251, v46, v44, s[78:79]                 // 00000000CE18: D10000FB 013A592E
	v_mov_b32_dpp v41, v73 row_shr:4 row_mask:0xf bank_mask:0xf// 00000000CE20: 7E5202FA FF011449
	v_mov_b32_dpp v42, v73 row_shl:4 row_mask:0xf bank_mask:0xf// 00000000CE28: 7E5402FA FF010449
	v_cndmask_b32_e64 v252, v73, v41, s[44:45]                 // 00000000CE30: D10000FC 00B25349
	v_cndmask_b32_e64 v253, v42, v73, s[44:45]                 // 00000000CE38: D10000FD 00B2932A
	v_mov_b32_dpp v41, v252 row_shr:8 row_mask:0xf bank_mask:0xf// 00000000CE40: 7E5202FA FF0118FC
	v_mov_b32_dpp v42, v252 row_shl:8 row_mask:0xf bank_mask:0xf// 00000000CE48: 7E5402FA FF0108FC
	v_mov_b32_dpp v43, v253 row_shr:8 row_mask:0xf bank_mask:0xf// 00000000CE50: 7E5602FA FF0118FD
	v_mov_b32_dpp v44, v253 row_shl:8 row_mask:0xf bank_mask:0xf// 00000000CE58: 7E5802FA FF0108FD
	v_mov_b32_e32 v45, v252                                    // 00000000CE60: 7E5A03FC
	v_mov_b32_e32 v46, v253                                    // 00000000CE64: 7E5C03FD
	v_cndmask_b32_e64 v252, v45, v41, s[42:43]                 // 00000000CE68: D10000FC 00AA532D
	v_cndmask_b32_e64 v254, v45, v42, s[78:79]                 // 00000000CE70: D10000FE 013A552D
	v_cndmask_b32_e64 v253, v46, v43, s[42:43]                 // 00000000CE78: D10000FD 00AA572E
	v_cndmask_b32_e64 v255, v46, v44, s[78:79]                 // 00000000CE80: D10000FF 013A592E
	buffer_load_dword v72, v70, s[36:39], 0 offen              // 00000000CE88: E0501000 80094846
	v_cvt_f32_i32_e32 v128, v128                               // 00000000CE90: 7F000B80
	v_cvt_f32_i32_e32 v129, v129                               // 00000000CE94: 7F020B81
	v_cvt_f32_i32_e32 v130, v130                               // 00000000CE98: 7F040B82
	v_cvt_f32_i32_e32 v131, v131                               // 00000000CE9C: 7F060B83
	v_cvt_f32_i32_e32 v132, v132                               // 00000000CEA0: 7F080B84
	v_cvt_f32_i32_e32 v133, v133                               // 00000000CEA4: 7F0A0B85
	v_cvt_f32_i32_e32 v134, v134                               // 00000000CEA8: 7F0C0B86
	v_cvt_f32_i32_e32 v135, v135                               // 00000000CEAC: 7F0E0B87
	v_cvt_f32_i32_e32 v136, v136                               // 00000000CEB0: 7F100B88
	v_cvt_f32_i32_e32 v137, v137                               // 00000000CEB4: 7F120B89
	v_cvt_f32_i32_e32 v138, v138                               // 00000000CEB8: 7F140B8A
	v_cvt_f32_i32_e32 v139, v139                               // 00000000CEBC: 7F160B8B
	v_cvt_f32_i32_e32 v140, v140                               // 00000000CEC0: 7F180B8C
	v_cvt_f32_i32_e32 v141, v141                               // 00000000CEC4: 7F1A0B8D
	v_cvt_f32_i32_e32 v142, v142                               // 00000000CEC8: 7F1C0B8E
	v_cvt_f32_i32_e32 v143, v143                               // 00000000CECC: 7F1E0B8F
	v_mul_f32_e32 v128, v54, v128                              // 00000000CED0: 0B010136
	v_mul_f32_e32 v129, v54, v129                              // 00000000CED4: 0B030336
	v_mul_f32_e32 v130, v54, v130                              // 00000000CED8: 0B050536
	v_mul_f32_e32 v131, v54, v131                              // 00000000CEDC: 0B070736
	v_mul_f32_e32 v132, v54, v132                              // 00000000CEE0: 0B090936
	v_mul_f32_e32 v133, v54, v133                              // 00000000CEE4: 0B0B0B36
	v_mul_f32_e32 v134, v54, v134                              // 00000000CEE8: 0B0D0D36
	v_mul_f32_e32 v135, v54, v135                              // 00000000CEEC: 0B0F0F36
	v_mul_f32_e32 v136, v54, v136                              // 00000000CEF0: 0B111136
	v_mul_f32_e32 v137, v54, v137                              // 00000000CEF4: 0B131336
	v_mul_f32_e32 v138, v54, v138                              // 00000000CEF8: 0B151536
	v_mul_f32_e32 v139, v54, v139                              // 00000000CEFC: 0B171736
	v_mul_f32_e32 v140, v54, v140                              // 00000000CF00: 0B191936
	v_mul_f32_e32 v141, v54, v141                              // 00000000CF04: 0B1B1B36
	v_mul_f32_e32 v142, v54, v142                              // 00000000CF08: 0B1D1D36
	v_mul_f32_e32 v143, v54, v143                              // 00000000CF0C: 0B1F1F36
	buffer_load_dwordx4 a[16:19], v27, s[16:19], 0 offen       // 00000000CF10: E05C1000 8084101B
	v_mul_f32_dpp v128, v248, v128 quad_perm:[0,0,0,0] row_mask:0xf bank_mask:0xf// 00000000CF18: 0B0100FA FF0000F8
	v_mul_f32_dpp v129, v248, v129 quad_perm:[1,1,1,1] row_mask:0xf bank_mask:0xf// 00000000CF20: 0B0302FA FF0055F8
	v_mul_f32_dpp v130, v248, v130 quad_perm:[2,2,2,2] row_mask:0xf bank_mask:0xf// 00000000CF28: 0B0504FA FF00AAF8
	v_mul_f32_dpp v131, v248, v131 quad_perm:[3,3,3,3] row_mask:0xf bank_mask:0xf// 00000000CF30: 0B0706FA FF00FFF8
	v_mul_f32_dpp v132, v249, v132 quad_perm:[0,0,0,0] row_mask:0xf bank_mask:0xf// 00000000CF38: 0B0908FA FF0000F9
	v_mul_f32_dpp v133, v249, v133 quad_perm:[1,1,1,1] row_mask:0xf bank_mask:0xf// 00000000CF40: 0B0B0AFA FF0055F9
	v_mul_f32_dpp v134, v249, v134 quad_perm:[2,2,2,2] row_mask:0xf bank_mask:0xf// 00000000CF48: 0B0D0CFA FF00AAF9
	v_mul_f32_dpp v135, v249, v135 quad_perm:[3,3,3,3] row_mask:0xf bank_mask:0xf// 00000000CF50: 0B0F0EFA FF00FFF9
	v_mul_f32_dpp v136, v250, v136 quad_perm:[0,0,0,0] row_mask:0xf bank_mask:0xf// 00000000CF58: 0B1110FA FF0000FA
	v_mul_f32_dpp v137, v250, v137 quad_perm:[1,1,1,1] row_mask:0xf bank_mask:0xf// 00000000CF60: 0B1312FA FF0055FA
	v_mul_f32_dpp v138, v250, v138 quad_perm:[2,2,2,2] row_mask:0xf bank_mask:0xf// 00000000CF68: 0B1514FA FF00AAFA
	v_mul_f32_dpp v139, v250, v139 quad_perm:[3,3,3,3] row_mask:0xf bank_mask:0xf// 00000000CF70: 0B1716FA FF00FFFA
	v_mul_f32_dpp v140, v251, v140 quad_perm:[0,0,0,0] row_mask:0xf bank_mask:0xf// 00000000CF78: 0B1918FA FF0000FB
	v_mul_f32_dpp v141, v251, v141 quad_perm:[1,1,1,1] row_mask:0xf bank_mask:0xf// 00000000CF80: 0B1B1AFA FF0055FB
	v_mul_f32_dpp v142, v251, v142 quad_perm:[2,2,2,2] row_mask:0xf bank_mask:0xf// 00000000CF88: 0B1D1CFA FF00AAFB
	v_mul_f32_dpp v143, v251, v143 quad_perm:[3,3,3,3] row_mask:0xf bank_mask:0xf// 00000000CF90: 0B1F1EFA FF00FFFB
	buffer_load_dwordx4 a[20:23], v27, s[16:19], 0 offen offset:1024// 00000000CF98: E05C1400 8084141B
	s_cmp_le_i32 s90, s89                                      // 00000000CFA0: BF05595A
	s_cbranch_scc1 label_2BDD                                  // 00000000CFA4: BF850073
	v_mov_b32_e32 v69, 0xff800000                              // 00000000CFA8: 7E8A02FF FF800000
	s_mov_b32 s60, s90                                         // 00000000CFB0: BEBC005A
	s_add_u32 s61, s89, 0xff                                   // 00000000CFB4: 803DFF59 000000FF
	v_mov_b32_e32 v41, s61                                     // 00000000CFBC: 7E52023D
	v_lshrrev_b32_e32 v240, 4, v0                              // 00000000CFC0: 21E00084
	v_mul_i32_i24_e32 v240, 4, v240                            // 00000000CFC4: 0DE1E084
	v_add_u32_e32 v240, s60, v240                              // 00000000CFC8: 69E1E03C
	v_and_b32_e32 v42, 15, v0                                  // 00000000CFCC: 2654008F
	v_lshrrev_b32_e32 v42, 3, v42                              // 00000000CFD0: 20545483
	s_mov_b32 s61, 0                                           // 00000000CFD4: BEBD0080
	s_mul_i32 s60, 16, s7                                      // 00000000CFD8: 923C0790
	v_add_u32_e32 v42, s61, v42                                // 00000000CFDC: 6854543D
	v_sub_u32_e32 v240, v240, v42                              // 00000000CFE0: 6BE055F0
	v_add_u32_e32 v240, s60, v240                              // 00000000CFE4: 69E1E03C
	v_add_u32_e32 v241, 1, v240                                // 00000000CFE8: 69E3E081
	v_add_u32_e32 v242, 2, v240                                // 00000000CFEC: 69E5E082
	v_add_u32_e32 v243, 3, v240                                // 00000000CFF0: 69E7E083
	v_cmp_le_u32_e64 s[40:41], v240, v41                       // 00000000CFF4: D0CB0028 000253F0
	v_add_u32_e32 v240, 64, v240                               // 00000000CFFC: 69E1E0C0
	s_nop 0                                                    // 00000000D000: BF800000
	v_cndmask_b32_e64 v128, v69, v128, s[40:41]                // 00000000D004: D1000080 00A30145
	v_cmp_le_u32_e64 s[40:41], v241, v41                       // 00000000D00C: D0CB0028 000253F1
	v_add_u32_e32 v241, 64, v241                               // 00000000D014: 69E3E2C0
	s_nop 0                                                    // 00000000D018: BF800000
	v_cndmask_b32_e64 v129, v69, v129, s[40:41]                // 00000000D01C: D1000081 00A30345
	v_cmp_le_u32_e64 s[40:41], v242, v41                       // 00000000D024: D0CB0028 000253F2
	v_add_u32_e32 v242, 64, v242                               // 00000000D02C: 69E5E4C0
	s_nop 0                                                    // 00000000D030: BF800000
	v_cndmask_b32_e64 v130, v69, v130, s[40:41]                // 00000000D034: D1000082 00A30545
	v_cmp_le_u32_e64 s[40:41], v243, v41                       // 00000000D03C: D0CB0028 000253F3
	v_add_u32_e32 v243, 64, v243                               // 00000000D044: 69E7E6C0
	s_nop 0                                                    // 00000000D048: BF800000
	v_cndmask_b32_e64 v131, v69, v131, s[40:41]                // 00000000D04C: D1000083 00A30745
	v_cmp_le_u32_e64 s[40:41], v240, v41                       // 00000000D054: D0CB0028 000253F0
	v_add_u32_e32 v240, 64, v240                               // 00000000D05C: 69E1E0C0
	s_nop 0                                                    // 00000000D060: BF800000
	v_cndmask_b32_e64 v132, v69, v132, s[40:41]                // 00000000D064: D1000084 00A30945
	v_cmp_le_u32_e64 s[40:41], v241, v41                       // 00000000D06C: D0CB0028 000253F1
	v_add_u32_e32 v241, 64, v241                               // 00000000D074: 69E3E2C0
	s_nop 0                                                    // 00000000D078: BF800000
	v_cndmask_b32_e64 v133, v69, v133, s[40:41]                // 00000000D07C: D1000085 00A30B45
	v_cmp_le_u32_e64 s[40:41], v242, v41                       // 00000000D084: D0CB0028 000253F2
	v_add_u32_e32 v242, 64, v242                               // 00000000D08C: 69E5E4C0
	s_nop 0                                                    // 00000000D090: BF800000
	v_cndmask_b32_e64 v134, v69, v134, s[40:41]                // 00000000D094: D1000086 00A30D45
	v_cmp_le_u32_e64 s[40:41], v243, v41                       // 00000000D09C: D0CB0028 000253F3
	v_add_u32_e32 v243, 64, v243                               // 00000000D0A4: 69E7E6C0
	s_nop 0                                                    // 00000000D0A8: BF800000
	v_cndmask_b32_e64 v135, v69, v135, s[40:41]                // 00000000D0AC: D1000087 00A30F45
	v_cmp_le_u32_e64 s[40:41], v240, v41                       // 00000000D0B4: D0CB0028 000253F0
	v_add_u32_e32 v240, 64, v240                               // 00000000D0BC: 69E1E0C0
	s_nop 0                                                    // 00000000D0C0: BF800000
	v_cndmask_b32_e64 v136, v69, v136, s[40:41]                // 00000000D0C4: D1000088 00A31145
	v_cmp_le_u32_e64 s[40:41], v241, v41                       // 00000000D0CC: D0CB0028 000253F1
	v_add_u32_e32 v241, 64, v241                               // 00000000D0D4: 69E3E2C0
	s_nop 0                                                    // 00000000D0D8: BF800000
	v_cndmask_b32_e64 v137, v69, v137, s[40:41]                // 00000000D0DC: D1000089 00A31345
	v_cmp_le_u32_e64 s[40:41], v242, v41                       // 00000000D0E4: D0CB0028 000253F2
	v_add_u32_e32 v242, 64, v242                               // 00000000D0EC: 69E5E4C0
	s_nop 0                                                    // 00000000D0F0: BF800000
	v_cndmask_b32_e64 v138, v69, v138, s[40:41]                // 00000000D0F4: D100008A 00A31545
	v_cmp_le_u32_e64 s[40:41], v243, v41                       // 00000000D0FC: D0CB0028 000253F3
	v_add_u32_e32 v243, 64, v243                               // 00000000D104: 69E7E6C0
	s_nop 0                                                    // 00000000D108: BF800000
	v_cndmask_b32_e64 v139, v69, v139, s[40:41]                // 00000000D10C: D100008B 00A31745
	v_cmp_le_u32_e64 s[40:41], v240, v41                       // 00000000D114: D0CB0028 000253F0
	v_add_u32_e32 v240, 64, v240                               // 00000000D11C: 69E1E0C0
	s_nop 0                                                    // 00000000D120: BF800000
	v_cndmask_b32_e64 v140, v69, v140, s[40:41]                // 00000000D124: D100008C 00A31945
	v_cmp_le_u32_e64 s[40:41], v241, v41                       // 00000000D12C: D0CB0028 000253F1
	v_add_u32_e32 v241, 64, v241                               // 00000000D134: 69E3E2C0
	s_nop 0                                                    // 00000000D138: BF800000
	v_cndmask_b32_e64 v141, v69, v141, s[40:41]                // 00000000D13C: D100008D 00A31B45
	v_cmp_le_u32_e64 s[40:41], v242, v41                       // 00000000D144: D0CB0028 000253F2
	v_add_u32_e32 v242, 64, v242                               // 00000000D14C: 69E5E4C0
	s_nop 0                                                    // 00000000D150: BF800000
	v_cndmask_b32_e64 v142, v69, v142, s[40:41]                // 00000000D154: D100008E 00A31D45
	v_cmp_le_u32_e64 s[40:41], v243, v41                       // 00000000D15C: D0CB0028 000253F3
	v_add_u32_e32 v243, 64, v243                               // 00000000D164: 69E7E6C0
	s_nop 0                                                    // 00000000D168: BF800000
	v_cndmask_b32_e64 v143, v69, v143, s[40:41]                // 00000000D16C: D100008F 00A31F45

000000000000d174 <label_2BDD>:
	v_mov_b32_e32 v62, v128                                    // 00000000D174: 7E7C0380
	v_max3_f32 v62, v128, v129, v62                            // 00000000D178: D1D3003E 04FB0380
	v_max3_f32 v62, v130, v131, v62                            // 00000000D180: D1D3003E 04FB0782
	v_max3_f32 v62, v132, v133, v62                            // 00000000D188: D1D3003E 04FB0B84
	v_max3_f32 v62, v134, v135, v62                            // 00000000D190: D1D3003E 04FB0F86
	v_max3_f32 v62, v136, v137, v62                            // 00000000D198: D1D3003E 04FB1388
	v_max3_f32 v62, v138, v139, v62                            // 00000000D1A0: D1D3003E 04FB178A
	v_max3_f32 v62, v140, v141, v62                            // 00000000D1A8: D1D3003E 04FB1B8C
	v_max3_f32 v62, v142, v143, v62                            // 00000000D1B0: D1D3003E 04FB1F8E
	ds_write_b32 v11, v62 offset:16896                         // 00000000D1B8: D81A4200 00003E0B
	buffer_load_dwordx4 a[24:27], v28, s[16:19], 0 offen       // 00000000D1C0: E05C1000 8084181C
	v_mul_u32_u24_dpp v41, v19, v68 row_newbcast:1 row_mask:0xf bank_mask:0xf// 00000000D1C8: 105288FA FF015113
	v_mul_u32_u24_dpp v42, v19, v68 row_newbcast:5 row_mask:0xf bank_mask:0xf// 00000000D1D0: 105488FA FF015513
	v_mul_u32_u24_dpp v43, v19, v68 row_newbcast:9 row_mask:0xf bank_mask:0xf// 00000000D1D8: 105688FA FF015913
	v_mul_u32_u24_dpp v44, v19, v68 row_newbcast:13 row_mask:0xf bank_mask:0xf// 00000000D1E0: 105888FA FF015D13
	v_add_u32_e32 v33, v41, v7                                 // 00000000D1E8: 68420F29
	v_add_u32_e32 v34, v42, v7                                 // 00000000D1EC: 68440F2A
	v_add_u32_e32 v35, v43, v7                                 // 00000000D1F0: 68460F2B
	v_add_u32_e32 v36, v44, v7                                 // 00000000D1F4: 68480F2C
	v_mul_f32_e32 v224, v63, v224                              // 00000000D1F8: 0BC1C13F
	v_mul_f32_e32 v225, v63, v225                              // 00000000D1FC: 0BC3C33F
	v_mul_f32_e32 v226, v63, v226                              // 00000000D200: 0BC5C53F
	v_mul_f32_e32 v227, v63, v227                              // 00000000D204: 0BC7C73F
	v_mul_f32_e32 v228, v63, v228                              // 00000000D208: 0BC9C93F
	v_mul_f32_e32 v229, v63, v229                              // 00000000D20C: 0BCBCB3F
	v_mul_f32_e32 v230, v63, v230                              // 00000000D210: 0BCDCD3F
	v_mul_f32_e32 v231, v63, v231                              // 00000000D214: 0BCFCF3F
	s_waitcnt lgkmcnt(0)                                       // 00000000D218: BF8CC07F
	s_barrier                                                  // 00000000D21C: BF8A0000
	ds_read_b32 v80, v10 offset:16896                          // 00000000D220: D86C4200 5000000A
	ds_read_b32 v81, v10 offset:16960                          // 00000000D228: D86C4240 5100000A
	ds_read_b32 v82, v10 offset:17024                          // 00000000D230: D86C4280 5200000A
	ds_read_b32 v83, v10 offset:17088                          // 00000000D238: D86C42C0 5300000A
	ds_read_b32 v84, v10 offset:17152                          // 00000000D240: D86C4300 5400000A
	ds_read_b32 v85, v10 offset:17216                          // 00000000D248: D86C4340 5500000A
	ds_read_b32 v86, v10 offset:17280                          // 00000000D250: D86C4380 5600000A
	ds_read_b32 v87, v10 offset:17344                          // 00000000D258: D86C43C0 5700000A
	ds_read_b32 v88, v10 offset:17408                          // 00000000D260: D86C4400 5800000A
	ds_read_b32 v89, v10 offset:17472                          // 00000000D268: D86C4440 5900000A
	ds_read_b32 v90, v10 offset:17536                          // 00000000D270: D86C4480 5A00000A
	ds_read_b32 v91, v10 offset:17600                          // 00000000D278: D86C44C0 5B00000A
	ds_read_b32 v92, v10 offset:17664                          // 00000000D280: D86C4500 5C00000A
	ds_read_b32 v93, v10 offset:17728                          // 00000000D288: D86C4540 5D00000A
	ds_read_b32 v94, v10 offset:17792                          // 00000000D290: D86C4580 5E00000A
	ds_read_b32 v95, v10 offset:17856                          // 00000000D298: D86C45C0 5F00000A
	buffer_load_dwordx4 a[28:31], v28, s[16:19], 0 offen offset:1024// 00000000D2A0: E05C1400 80841C1C
	v_cvt_f32_i32_e32 v192, v192                               // 00000000D2A8: 7F800BC0
	v_cvt_f32_i32_e32 v193, v193                               // 00000000D2AC: 7F820BC1
	v_cvt_f32_i32_e32 v194, v194                               // 00000000D2B0: 7F840BC2
	v_cvt_f32_i32_e32 v195, v195                               // 00000000D2B4: 7F860BC3
	v_cvt_f32_i32_e32 v196, v196                               // 00000000D2B8: 7F880BC4
	v_cvt_f32_i32_e32 v197, v197                               // 00000000D2BC: 7F8A0BC5
	v_cvt_f32_i32_e32 v198, v198                               // 00000000D2C0: 7F8C0BC6
	v_cvt_f32_i32_e32 v199, v199                               // 00000000D2C4: 7F8E0BC7
	v_mul_f32_e32 v192, v58, v192                              // 00000000D2C8: 0B81813A
	v_mul_f32_e32 v193, v58, v193                              // 00000000D2CC: 0B83833A
	v_mul_f32_e32 v194, v58, v194                              // 00000000D2D0: 0B85853A
	v_mul_f32_e32 v195, v58, v195                              // 00000000D2D4: 0B87873A
	v_mul_f32_e32 v196, v58, v196                              // 00000000D2D8: 0B89893A
	v_mul_f32_e32 v197, v58, v197                              // 00000000D2DC: 0B8B8B3A
	v_mul_f32_e32 v198, v58, v198                              // 00000000D2E0: 0B8D8D3A
	v_mul_f32_e32 v199, v58, v199                              // 00000000D2E4: 0B8F8F3A
	s_waitcnt lgkmcnt(0)                                       // 00000000D2E8: BF8CC07F
	v_max3_f32 v62, v80, v81, v62                              // 00000000D2EC: D1D3003E 04FAA350
	v_max3_f32 v62, v82, v83, v62                              // 00000000D2F4: D1D3003E 04FAA752
	v_max3_f32 v62, v84, v85, v62                              // 00000000D2FC: D1D3003E 04FAAB54
	v_max3_f32 v62, v86, v87, v62                              // 00000000D304: D1D3003E 04FAAF56
	v_max3_f32 v62, v88, v89, v62                              // 00000000D30C: D1D3003E 04FAB358
	v_max3_f32 v62, v90, v91, v62                              // 00000000D314: D1D3003E 04FAB75A
	v_max3_f32 v62, v92, v93, v62                              // 00000000D31C: D1D3003E 04FABB5C
	v_max3_f32 v62, v94, v95, v62                              // 00000000D324: D1D3003E 04FABF5E
	buffer_load_dwordx4 a[64:67], v33, s[20:23], 0 offen       // 00000000D32C: E05C1000 80854021
	v_mov_b32_e32 v41, 0xff800000                              // 00000000D334: 7E5202FF FF800000
	v_cmp_eq_u32_e64 s[40:41], v41, v14                        // 00000000D33C: D0CA0028 00021D29
	s_nop 1                                                    // 00000000D344: BF800001
	v_max_f32_e32 v18, v62, v14                                // 00000000D348: 16241D3E
	v_mul_f32_e32 v67, s64, v18                                // 00000000D34C: 0A862440
	v_fma_f32 v128, v128, s64, -v67                            // 00000000D350: D1CB0080 850C8180
	v_fma_f32 v129, v129, s64, -v67                            // 00000000D358: D1CB0081 850C8181
	v_fma_f32 v130, v130, s64, -v67                            // 00000000D360: D1CB0082 850C8182
	v_fma_f32 v131, v131, s64, -v67                            // 00000000D368: D1CB0083 850C8183
	v_fma_f32 v132, v132, s64, -v67                            // 00000000D370: D1CB0084 850C8184
	v_fma_f32 v133, v133, s64, -v67                            // 00000000D378: D1CB0085 850C8185
	v_fma_f32 v134, v134, s64, -v67                            // 00000000D380: D1CB0086 850C8186
	v_fma_f32 v135, v135, s64, -v67                            // 00000000D388: D1CB0087 850C8187
	v_fma_f32 v136, v136, s64, -v67                            // 00000000D390: D1CB0088 850C8188
	v_fma_f32 v137, v137, s64, -v67                            // 00000000D398: D1CB0089 850C8189
	v_fma_f32 v138, v138, s64, -v67                            // 00000000D3A0: D1CB008A 850C818A
	v_fma_f32 v139, v139, s64, -v67                            // 00000000D3A8: D1CB008B 850C818B
	v_fma_f32 v140, v140, s64, -v67                            // 00000000D3B0: D1CB008C 850C818C
	v_fma_f32 v141, v141, s64, -v67                            // 00000000D3B8: D1CB008D 850C818D
	v_fma_f32 v142, v142, s64, -v67                            // 00000000D3C0: D1CB008E 850C818E
	v_fma_f32 v143, v143, s64, -v67                            // 00000000D3C8: D1CB008F 850C818F
	buffer_load_dwordx4 a[68:71], v34, s[20:23], 0 offen       // 00000000D3D0: E05C1000 80854422
	v_exp_f32_e32 v128, v128                                   // 00000000D3D8: 7F004180
	v_exp_f32_e32 v129, v129                                   // 00000000D3DC: 7F024181
	v_exp_f32_e32 v130, v130                                   // 00000000D3E0: 7F044182
	v_exp_f32_e32 v131, v131                                   // 00000000D3E4: 7F064183
	v_exp_f32_e32 v132, v132                                   // 00000000D3E8: 7F084184
	v_exp_f32_e32 v133, v133                                   // 00000000D3EC: 7F0A4185
	v_exp_f32_e32 v134, v134                                   // 00000000D3F0: 7F0C4186
	v_exp_f32_e32 v135, v135                                   // 00000000D3F4: 7F0E4187
	v_exp_f32_e32 v136, v136                                   // 00000000D3F8: 7F104188
	v_exp_f32_e32 v137, v137                                   // 00000000D3FC: 7F124189
	v_exp_f32_e32 v138, v138                                   // 00000000D400: 7F14418A
	v_exp_f32_e32 v139, v139                                   // 00000000D404: 7F16418B
	v_exp_f32_e32 v140, v140                                   // 00000000D408: 7F18418C
	v_exp_f32_e32 v141, v141                                   // 00000000D40C: 7F1A418D
	v_exp_f32_e32 v142, v142                                   // 00000000D410: 7F1C418E
	v_exp_f32_e32 v143, v143                                   // 00000000D414: 7F1E418F
	buffer_load_dwordx4 a[72:75], v35, s[20:23], 0 offen       // 00000000D418: E05C1000 80854823
	v_mul_f32_dpp v240, v252, v128 quad_perm:[0,0,0,0] row_mask:0xf bank_mask:0xf// 00000000D420: 0BE100FA FF0000FC
	v_mul_f32_dpp v241, v252, v129 quad_perm:[1,1,1,1] row_mask:0xf bank_mask:0xf// 00000000D428: 0BE302FA FF0055FC
	v_mul_f32_dpp v242, v252, v130 quad_perm:[2,2,2,2] row_mask:0xf bank_mask:0xf// 00000000D430: 0BE504FA FF00AAFC
	v_mul_f32_dpp v243, v252, v131 quad_perm:[3,3,3,3] row_mask:0xf bank_mask:0xf// 00000000D438: 0BE706FA FF00FFFC
	v_mul_f32_dpp v244, v253, v132 quad_perm:[0,0,0,0] row_mask:0xf bank_mask:0xf// 00000000D440: 0BE908FA FF0000FD
	v_mul_f32_dpp v245, v253, v133 quad_perm:[1,1,1,1] row_mask:0xf bank_mask:0xf// 00000000D448: 0BEB0AFA FF0055FD
	v_mul_f32_dpp v246, v253, v134 quad_perm:[2,2,2,2] row_mask:0xf bank_mask:0xf// 00000000D450: 0BED0CFA FF00AAFD
	v_mul_f32_dpp v247, v253, v135 quad_perm:[3,3,3,3] row_mask:0xf bank_mask:0xf// 00000000D458: 0BEF0EFA FF00FFFD
	v_mul_f32_dpp v248, v254, v136 quad_perm:[0,0,0,0] row_mask:0xf bank_mask:0xf// 00000000D460: 0BF110FA FF0000FE
	v_mul_f32_dpp v249, v254, v137 quad_perm:[1,1,1,1] row_mask:0xf bank_mask:0xf// 00000000D468: 0BF312FA FF0055FE
	v_mul_f32_dpp v250, v254, v138 quad_perm:[2,2,2,2] row_mask:0xf bank_mask:0xf// 00000000D470: 0BF514FA FF00AAFE
	v_mul_f32_dpp v251, v254, v139 quad_perm:[3,3,3,3] row_mask:0xf bank_mask:0xf// 00000000D478: 0BF716FA FF00FFFE
	v_mul_f32_dpp v252, v255, v140 quad_perm:[0,0,0,0] row_mask:0xf bank_mask:0xf// 00000000D480: 0BF918FA FF0000FF
	v_mul_f32_dpp v253, v255, v141 quad_perm:[1,1,1,1] row_mask:0xf bank_mask:0xf// 00000000D488: 0BFB1AFA FF0055FF
	v_mul_f32_dpp v254, v255, v142 quad_perm:[2,2,2,2] row_mask:0xf bank_mask:0xf// 00000000D490: 0BFD1CFA FF00AAFF
	v_mul_f32_dpp v255, v255, v143 quad_perm:[3,3,3,3] row_mask:0xf bank_mask:0xf// 00000000D498: 0BFF1EFA FF00FFFF
	v_mov_b32_e32 v62, 0x358637bd                              // 00000000D4A0: 7E7C02FF 358637BD
	v_max3_f32 v62, |v240|, |v241|, v62                        // 00000000D4A8: D1D3033E 04FBE3F0
	v_max3_f32 v62, |v242|, |v243|, v62                        // 00000000D4B0: D1D3033E 04FBE7F2
	v_max3_f32 v62, |v244|, |v245|, v62                        // 00000000D4B8: D1D3033E 04FBEBF4
	v_max3_f32 v62, |v246|, |v247|, v62                        // 00000000D4C0: D1D3033E 04FBEFF6
	v_max3_f32 v62, |v248|, |v249|, v62                        // 00000000D4C8: D1D3033E 04FBF3F8
	v_max3_f32 v62, |v250|, |v251|, v62                        // 00000000D4D0: D1D3033E 04FBF7FA
	v_max3_f32 v62, |v252|, |v253|, v62                        // 00000000D4D8: D1D3033E 04FBFBFC
	v_max3_f32 v62, |v254|, |v255|, v62                        // 00000000D4E0: D1D3033E 04FBFFFE
	buffer_load_dwordx4 a[76:79], v36, s[20:23], 0 offen       // 00000000D4E8: E05C1000 80854C24
	ds_write_b32 v11, v62 offset:20992                         // 00000000D4F0: D81A5200 00003E0B
	v_sub_f32_e32 v63, v14, v18                                // 00000000D4F8: 047E250E
	v_cndmask_b32_e64 v63, v63, 0, s[40:41]                    // 00000000D4FC: D100003F 00A1013F
	v_mov_b32_e32 v14, v18                                     // 00000000D504: 7E1C0312
	v_mul_f32_e32 v63, s64, v63                                // 00000000D508: 0A7E7E40
	v_exp_f32_e32 v63, v63                                     // 00000000D50C: 7E7E413F
	s_waitcnt lgkmcnt(0)                                       // 00000000D510: BF8CC07F
	s_barrier                                                  // 00000000D514: BF8A0000
	ds_read_b32 v80, v10 offset:20992                          // 00000000D518: D86C5200 5000000A
	ds_read_b32 v81, v10 offset:21056                          // 00000000D520: D86C5240 5100000A
	ds_read_b32 v82, v10 offset:21120                          // 00000000D528: D86C5280 5200000A
	ds_read_b32 v83, v10 offset:21184                          // 00000000D530: D86C52C0 5300000A
	ds_read_b32 v84, v10 offset:21248                          // 00000000D538: D86C5300 5400000A
	ds_read_b32 v85, v10 offset:21312                          // 00000000D540: D86C5340 5500000A
	ds_read_b32 v86, v10 offset:21376                          // 00000000D548: D86C5380 5600000A
	ds_read_b32 v87, v10 offset:21440                          // 00000000D550: D86C53C0 5700000A
	ds_read_b32 v88, v10 offset:21504                          // 00000000D558: D86C5400 5800000A
	ds_read_b32 v89, v10 offset:21568                          // 00000000D560: D86C5440 5900000A
	ds_read_b32 v90, v10 offset:21632                          // 00000000D568: D86C5480 5A00000A
	ds_read_b32 v91, v10 offset:21696                          // 00000000D570: D86C54C0 5B00000A
	ds_read_b32 v92, v10 offset:21760                          // 00000000D578: D86C5500 5C00000A
	ds_read_b32 v93, v10 offset:21824                          // 00000000D580: D86C5540 5D00000A
	ds_read_b32 v94, v10 offset:21888                          // 00000000D588: D86C5580 5E00000A
	ds_read_b32 v95, v10 offset:21952                          // 00000000D590: D86C55C0 5F00000A
	v_mul_f32_e32 v47, v63, v47                                // 00000000D598: 0A5E5F3F
	v_mov_b32_e32 v18, v128                                    // 00000000D59C: 7E240380
	v_add_f32_e32 v18, v129, v18                               // 00000000D5A0: 02242581
	v_add_f32_e32 v18, v130, v18                               // 00000000D5A4: 02242582
	v_add_f32_e32 v18, v131, v18                               // 00000000D5A8: 02242583
	v_add_f32_e32 v18, v132, v18                               // 00000000D5AC: 02242584
	v_add_f32_e32 v18, v133, v18                               // 00000000D5B0: 02242585
	v_add_f32_e32 v18, v134, v18                               // 00000000D5B4: 02242586
	v_add_f32_e32 v18, v135, v18                               // 00000000D5B8: 02242587
	v_add_f32_e32 v18, v136, v18                               // 00000000D5BC: 02242588
	v_add_f32_e32 v18, v137, v18                               // 00000000D5C0: 02242589
	v_add_f32_e32 v18, v138, v18                               // 00000000D5C4: 0224258A
	v_add_f32_e32 v18, v139, v18                               // 00000000D5C8: 0224258B
	v_add_f32_e32 v18, v140, v18                               // 00000000D5CC: 0224258C
	v_add_f32_e32 v18, v141, v18                               // 00000000D5D0: 0224258D
	v_add_f32_e32 v18, v142, v18                               // 00000000D5D4: 0224258E
	v_add_f32_e32 v18, v143, v18                               // 00000000D5D8: 0224258F
	v_add_f32_e32 v47, v18, v47                                // 00000000D5DC: 025E5F12
	s_waitcnt lgkmcnt(0)                                       // 00000000D5E0: BF8CC07F
	v_max3_f32 v62, |v80|, |v81|, v62                          // 00000000D5E4: D1D3033E 04FAA350
	v_max3_f32 v62, |v82|, |v83|, v62                          // 00000000D5EC: D1D3033E 04FAA752
	v_max3_f32 v62, |v84|, |v85|, v62                          // 00000000D5F4: D1D3033E 04FAAB54
	v_max3_f32 v62, |v86|, |v87|, v62                          // 00000000D5FC: D1D3033E 04FAAF56
	v_max3_f32 v62, |v88|, |v89|, v62                          // 00000000D604: D1D3033E 04FAB358
	v_max3_f32 v62, |v90|, |v91|, v62                          // 00000000D60C: D1D3033E 04FAB75A
	v_max3_f32 v62, |v92|, |v93|, v62                          // 00000000D614: D1D3033E 04FABB5C
	v_max3_f32 v62, |v94|, |v95|, v62                          // 00000000D61C: D1D3033E 04FABF5E
	s_nop 2                                                    // 00000000D624: BF800002
	v_rcp_f32_e32 v62, v62                                     // 00000000D628: 7E7C453E
	s_nop 1                                                    // 00000000D62C: BF800001
	v_mul_f32_e32 v62, 0x42fe0000, v62                         // 00000000D630: 0A7C7CFF 42FE0000
	v_mul_f32_e32 v128, v62, v240                              // 00000000D638: 0B01E13E
	v_mul_f32_e32 v129, v62, v241                              // 00000000D63C: 0B03E33E
	v_mul_f32_e32 v130, v62, v242                              // 00000000D640: 0B05E53E
	v_mul_f32_e32 v131, v62, v243                              // 00000000D644: 0B07E73E
	v_mul_f32_e32 v132, v62, v244                              // 00000000D648: 0B09E93E
	v_mul_f32_e32 v133, v62, v245                              // 00000000D64C: 0B0BEB3E
	v_mul_f32_e32 v134, v62, v246                              // 00000000D650: 0B0DED3E
	v_mul_f32_e32 v135, v62, v247                              // 00000000D654: 0B0FEF3E
	v_mul_f32_e32 v136, v62, v248                              // 00000000D658: 0B11F13E
	v_mul_f32_e32 v137, v62, v249                              // 00000000D65C: 0B13F33E
	v_mul_f32_e32 v138, v62, v250                              // 00000000D660: 0B15F53E
	v_mul_f32_e32 v139, v62, v251                              // 00000000D664: 0B17F73E
	v_mul_f32_e32 v140, v62, v252                              // 00000000D668: 0B19F93E
	v_mul_f32_e32 v141, v62, v253                              // 00000000D66C: 0B1BFB3E
	v_mul_f32_e32 v142, v62, v254                              // 00000000D670: 0B1DFD3E
	v_mul_f32_e32 v143, v62, v255                              // 00000000D674: 0B1FFF3E
	v_cvt_i32_f32_e32 v128, v128                               // 00000000D678: 7F001180
	v_cvt_i32_f32_e32 v129, v129                               // 00000000D67C: 7F021181
	v_cvt_i32_f32_e32 v130, v130                               // 00000000D680: 7F041182
	v_cvt_i32_f32_e32 v131, v131                               // 00000000D684: 7F061183
	v_cvt_i32_f32_e32 v132, v132                               // 00000000D688: 7F081184
	v_cvt_i32_f32_e32 v133, v133                               // 00000000D68C: 7F0A1185
	v_cvt_i32_f32_e32 v134, v134                               // 00000000D690: 7F0C1186
	v_cvt_i32_f32_e32 v135, v135                               // 00000000D694: 7F0E1187
	v_cvt_i32_f32_e32 v136, v136                               // 00000000D698: 7F101188
	v_cvt_i32_f32_e32 v137, v137                               // 00000000D69C: 7F121189
	v_cvt_i32_f32_e32 v138, v138                               // 00000000D6A0: 7F14118A
	v_cvt_i32_f32_e32 v139, v139                               // 00000000D6A4: 7F16118B
	v_cvt_i32_f32_e32 v140, v140                               // 00000000D6A8: 7F18118C
	v_cvt_i32_f32_e32 v141, v141                               // 00000000D6AC: 7F1A118D
	v_cvt_i32_f32_e32 v142, v142                               // 00000000D6B0: 7F1C118E
	v_cvt_i32_f32_e32 v143, v143                               // 00000000D6B4: 7F1E118F
	v_perm_b32 v128, v129, v128, s53                           // 00000000D6B8: D1ED0080 00D70181
	v_perm_b32 v128, v130, v128, s54                           // 00000000D6C0: D1ED0080 00DB0182
	v_perm_b32 v128, v131, v128, s55                           // 00000000D6C8: D1ED0080 00DF0183
	v_perm_b32 v129, v133, v132, s53                           // 00000000D6D0: D1ED0081 00D70985
	v_perm_b32 v129, v134, v129, s54                           // 00000000D6D8: D1ED0081 00DB0386
	v_perm_b32 v129, v135, v129, s55                           // 00000000D6E0: D1ED0081 00DF0387
	v_perm_b32 v130, v137, v136, s53                           // 00000000D6E8: D1ED0082 00D71189
	v_perm_b32 v130, v138, v130, s54                           // 00000000D6F0: D1ED0082 00DB058A
	v_perm_b32 v130, v139, v130, s55                           // 00000000D6F8: D1ED0082 00DF058B
	v_perm_b32 v131, v141, v140, s53                           // 00000000D700: D1ED0083 00D7198D
	v_perm_b32 v131, v142, v131, s54                           // 00000000D708: D1ED0083 00DB078E
	v_perm_b32 v131, v143, v131, s55                           // 00000000D710: D1ED0083 00DF078F
	ds_write_b32 v13, v128 offset:25088                        // 00000000D718: D81A6200 0000800D
	ds_write_b32 v13, v129 offset:26112                        // 00000000D720: D81A6600 0000810D
	ds_write_b32 v13, v130 offset:27136                        // 00000000D728: D81A6A00 0000820D
	ds_write_b32 v13, v131 offset:28160                        // 00000000D730: D81A6E00 0000830D
	v_add_f32_e32 v224, v224, v192                             // 00000000D738: 03C181E0
	v_add_f32_e32 v225, v225, v193                             // 00000000D73C: 03C383E1
	v_add_f32_e32 v226, v226, v194                             // 00000000D740: 03C585E2
	v_add_f32_e32 v227, v227, v195                             // 00000000D744: 03C787E3
	v_add_f32_e32 v228, v228, v196                             // 00000000D748: 03C989E4
	v_add_f32_e32 v229, v229, v197                             // 00000000D74C: 03CB8BE5
	v_add_f32_e32 v230, v230, v198                             // 00000000D750: 03CD8DE6
	v_add_f32_e32 v231, v231, v199                             // 00000000D754: 03CF8FE7
	v_rcp_f32_e32 v58, v62                                     // 00000000D758: 7E74453E
	s_waitcnt lgkmcnt(0)                                       // 00000000D75C: BF8CC07F
	s_barrier                                                  // 00000000D760: BF8A0000
	ds_read_b64 v[128:129], v12 offset:25088                   // 00000000D764: D8EC6200 8000000C
	ds_read_b64 v[130:131], v12 offset:25216                   // 00000000D76C: D8EC6280 8200000C
	ds_read_b64 v[132:133], v12 offset:26112                   // 00000000D774: D8EC6600 8400000C
	ds_read_b64 v[134:135], v12 offset:26240                   // 00000000D77C: D8EC6680 8600000C
	ds_read_b64 v[136:137], v12 offset:27136                   // 00000000D784: D8EC6A00 8800000C
	ds_read_b64 v[138:139], v12 offset:27264                   // 00000000D78C: D8EC6A80 8A00000C
	ds_read_b64 v[140:141], v12 offset:28160                   // 00000000D794: D8EC6E00 8C00000C
	ds_read_b64 v[142:143], v12 offset:28288                   // 00000000D79C: D8EC6E80 8E00000C
	v_mov_b32_dpp v41, v53 row_shr:4 row_mask:0xf bank_mask:0xf// 00000000D7A4: 7E5202FA FF011435
	v_mov_b32_dpp v42, v53 row_shl:4 row_mask:0xf bank_mask:0xf// 00000000D7AC: 7E5402FA FF010435
	v_cndmask_b32_e64 v248, v53, v41, s[44:45]                 // 00000000D7B4: D10000F8 00B25335
	v_cndmask_b32_e64 v249, v42, v53, s[44:45]                 // 00000000D7BC: D10000F9 00B26B2A
	v_mov_b32_dpp v41, v248 row_shr:8 row_mask:0xf bank_mask:0xf// 00000000D7C4: 7E5202FA FF0118F8
	v_mov_b32_dpp v42, v248 row_shl:8 row_mask:0xf bank_mask:0xf// 00000000D7CC: 7E5402FA FF0108F8
	v_mov_b32_dpp v43, v249 row_shr:8 row_mask:0xf bank_mask:0xf// 00000000D7D4: 7E5602FA FF0118F9
	v_mov_b32_dpp v44, v249 row_shl:8 row_mask:0xf bank_mask:0xf// 00000000D7DC: 7E5802FA FF0108F9
	v_mov_b32_e32 v45, v248                                    // 00000000D7E4: 7E5A03F8
	v_mov_b32_e32 v46, v249                                    // 00000000D7E8: 7E5C03F9
	v_cndmask_b32_e64 v248, v45, v41, s[42:43]                 // 00000000D7EC: D10000F8 00AA532D
	v_cndmask_b32_e64 v250, v45, v42, s[78:79]                 // 00000000D7F4: D10000FA 013A552D
	v_cndmask_b32_e64 v249, v46, v43, s[42:43]                 // 00000000D7FC: D10000F9 00AA572E
	v_cndmask_b32_e64 v251, v46, v44, s[78:79]                 // 00000000D804: D10000FB 013A592E
	v_mov_b32_dpp v41, v73 row_shr:4 row_mask:0xf bank_mask:0xf// 00000000D80C: 7E5202FA FF011449
	v_mov_b32_dpp v42, v73 row_shl:4 row_mask:0xf bank_mask:0xf// 00000000D814: 7E5402FA FF010449
	v_cndmask_b32_e64 v252, v73, v41, s[44:45]                 // 00000000D81C: D10000FC 00B25349
	v_cndmask_b32_e64 v253, v42, v73, s[44:45]                 // 00000000D824: D10000FD 00B2932A
	v_mov_b32_dpp v41, v252 row_shr:8 row_mask:0xf bank_mask:0xf// 00000000D82C: 7E5202FA FF0118FC
	v_mov_b32_dpp v42, v252 row_shl:8 row_mask:0xf bank_mask:0xf// 00000000D834: 7E5402FA FF0108FC
	v_mov_b32_dpp v43, v253 row_shr:8 row_mask:0xf bank_mask:0xf// 00000000D83C: 7E5602FA FF0118FD
	v_mov_b32_dpp v44, v253 row_shl:8 row_mask:0xf bank_mask:0xf// 00000000D844: 7E5802FA FF0108FD
	v_mov_b32_e32 v45, v252                                    // 00000000D84C: 7E5A03FC
	v_mov_b32_e32 v46, v253                                    // 00000000D850: 7E5C03FD
	v_cndmask_b32_e64 v252, v45, v41, s[42:43]                 // 00000000D854: D10000FC 00AA532D
	v_cndmask_b32_e64 v254, v45, v42, s[78:79]                 // 00000000D85C: D10000FE 013A552D
	v_cndmask_b32_e64 v253, v46, v43, s[42:43]                 // 00000000D864: D10000FD 00AA572E
	v_cndmask_b32_e64 v255, v46, v44, s[78:79]                 // 00000000D86C: D10000FF 013A592E
	v_cvt_f32_i32_e32 v144, v144                               // 00000000D874: 7F200B90
	v_cvt_f32_i32_e32 v145, v145                               // 00000000D878: 7F220B91
	v_cvt_f32_i32_e32 v146, v146                               // 00000000D87C: 7F240B92
	v_cvt_f32_i32_e32 v147, v147                               // 00000000D880: 7F260B93
	v_cvt_f32_i32_e32 v148, v148                               // 00000000D884: 7F280B94
	v_cvt_f32_i32_e32 v149, v149                               // 00000000D888: 7F2A0B95
	v_cvt_f32_i32_e32 v150, v150                               // 00000000D88C: 7F2C0B96
	v_cvt_f32_i32_e32 v151, v151                               // 00000000D890: 7F2E0B97
	v_cvt_f32_i32_e32 v152, v152                               // 00000000D894: 7F300B98
	v_cvt_f32_i32_e32 v153, v153                               // 00000000D898: 7F320B99
	v_cvt_f32_i32_e32 v154, v154                               // 00000000D89C: 7F340B9A
	v_cvt_f32_i32_e32 v155, v155                               // 00000000D8A0: 7F360B9B
	v_cvt_f32_i32_e32 v156, v156                               // 00000000D8A4: 7F380B9C
	v_cvt_f32_i32_e32 v157, v157                               // 00000000D8A8: 7F3A0B9D
	v_cvt_f32_i32_e32 v158, v158                               // 00000000D8AC: 7F3C0B9E
	v_cvt_f32_i32_e32 v159, v159                               // 00000000D8B0: 7F3E0B9F
	v_mul_f32_e32 v144, v55, v144                              // 00000000D8B4: 0B212137
	v_mul_f32_e32 v145, v55, v145                              // 00000000D8B8: 0B232337
	v_mul_f32_e32 v146, v55, v146                              // 00000000D8BC: 0B252537
	v_mul_f32_e32 v147, v55, v147                              // 00000000D8C0: 0B272737
	v_mul_f32_e32 v148, v55, v148                              // 00000000D8C4: 0B292937
	v_mul_f32_e32 v149, v55, v149                              // 00000000D8C8: 0B2B2B37
	v_mul_f32_e32 v150, v55, v150                              // 00000000D8CC: 0B2D2D37
	v_mul_f32_e32 v151, v55, v151                              // 00000000D8D0: 0B2F2F37
	v_mul_f32_e32 v152, v55, v152                              // 00000000D8D4: 0B313137
	v_mul_f32_e32 v153, v55, v153                              // 00000000D8D8: 0B333337
	v_mul_f32_e32 v154, v55, v154                              // 00000000D8DC: 0B353537
	v_mul_f32_e32 v155, v55, v155                              // 00000000D8E0: 0B373737
	v_mul_f32_e32 v156, v55, v156                              // 00000000D8E4: 0B393937
	v_mul_f32_e32 v157, v55, v157                              // 00000000D8E8: 0B3B3B37
	v_mul_f32_e32 v158, v55, v158                              // 00000000D8EC: 0B3D3D37
	v_mul_f32_e32 v159, v55, v159                              // 00000000D8F0: 0B3F3F37
	v_mul_f32_dpp v144, v248, v144 quad_perm:[0,0,0,0] row_mask:0xf bank_mask:0xf// 00000000D8F4: 0B2120FA FF0000F8
	v_mul_f32_dpp v145, v248, v145 quad_perm:[1,1,1,1] row_mask:0xf bank_mask:0xf// 00000000D8FC: 0B2322FA FF0055F8
	v_mul_f32_dpp v146, v248, v146 quad_perm:[2,2,2,2] row_mask:0xf bank_mask:0xf// 00000000D904: 0B2524FA FF00AAF8
	v_mul_f32_dpp v147, v248, v147 quad_perm:[3,3,3,3] row_mask:0xf bank_mask:0xf// 00000000D90C: 0B2726FA FF00FFF8
	v_mul_f32_dpp v148, v249, v148 quad_perm:[0,0,0,0] row_mask:0xf bank_mask:0xf// 00000000D914: 0B2928FA FF0000F9
	v_mul_f32_dpp v149, v249, v149 quad_perm:[1,1,1,1] row_mask:0xf bank_mask:0xf// 00000000D91C: 0B2B2AFA FF0055F9
	v_mul_f32_dpp v150, v249, v150 quad_perm:[2,2,2,2] row_mask:0xf bank_mask:0xf// 00000000D924: 0B2D2CFA FF00AAF9
	v_mul_f32_dpp v151, v249, v151 quad_perm:[3,3,3,3] row_mask:0xf bank_mask:0xf// 00000000D92C: 0B2F2EFA FF00FFF9
	v_mul_f32_dpp v152, v250, v152 quad_perm:[0,0,0,0] row_mask:0xf bank_mask:0xf// 00000000D934: 0B3130FA FF0000FA
	v_mul_f32_dpp v153, v250, v153 quad_perm:[1,1,1,1] row_mask:0xf bank_mask:0xf// 00000000D93C: 0B3332FA FF0055FA
	v_mul_f32_dpp v154, v250, v154 quad_perm:[2,2,2,2] row_mask:0xf bank_mask:0xf// 00000000D944: 0B3534FA FF00AAFA
	v_mul_f32_dpp v155, v250, v155 quad_perm:[3,3,3,3] row_mask:0xf bank_mask:0xf// 00000000D94C: 0B3736FA FF00FFFA
	v_mul_f32_dpp v156, v251, v156 quad_perm:[0,0,0,0] row_mask:0xf bank_mask:0xf// 00000000D954: 0B3938FA FF0000FB
	v_mul_f32_dpp v157, v251, v157 quad_perm:[1,1,1,1] row_mask:0xf bank_mask:0xf// 00000000D95C: 0B3B3AFA FF0055FB
	v_mul_f32_dpp v158, v251, v158 quad_perm:[2,2,2,2] row_mask:0xf bank_mask:0xf// 00000000D964: 0B3D3CFA FF00AAFB
	v_mul_f32_dpp v159, v251, v159 quad_perm:[3,3,3,3] row_mask:0xf bank_mask:0xf// 00000000D96C: 0B3F3EFA FF00FFFB
	s_cmp_le_i32 s90, s89                                      // 00000000D974: BF05595A
	s_cbranch_scc1 label_2E52                                  // 00000000D978: BF850073
	v_mov_b32_e32 v69, 0xff800000                              // 00000000D97C: 7E8A02FF FF800000
	s_mov_b32 s60, s90                                         // 00000000D984: BEBC005A
	s_add_u32 s61, s89, 0xff                                   // 00000000D988: 803DFF59 000000FF
	v_mov_b32_e32 v41, s61                                     // 00000000D990: 7E52023D
	v_lshrrev_b32_e32 v240, 4, v0                              // 00000000D994: 21E00084
	v_mul_i32_i24_e32 v240, 4, v240                            // 00000000D998: 0DE1E084
	v_add_u32_e32 v240, s60, v240                              // 00000000D99C: 69E1E03C
	v_and_b32_e32 v42, 15, v0                                  // 00000000D9A0: 2654008F
	v_lshrrev_b32_e32 v42, 3, v42                              // 00000000D9A4: 20545483
	s_mov_b32 s61, 2                                           // 00000000D9A8: BEBD0082
	s_mul_i32 s60, 16, s7                                      // 00000000D9AC: 923C0790
	v_add_u32_e32 v42, s61, v42                                // 00000000D9B0: 6854543D
	v_sub_u32_e32 v240, v240, v42                              // 00000000D9B4: 6BE055F0
	v_add_u32_e32 v240, s60, v240                              // 00000000D9B8: 69E1E03C
	v_add_u32_e32 v241, 1, v240                                // 00000000D9BC: 69E3E081
	v_add_u32_e32 v242, 2, v240                                // 00000000D9C0: 69E5E082
	v_add_u32_e32 v243, 3, v240                                // 00000000D9C4: 69E7E083
	v_cmp_le_u32_e64 s[40:41], v240, v41                       // 00000000D9C8: D0CB0028 000253F0
	v_add_u32_e32 v240, 64, v240                               // 00000000D9D0: 69E1E0C0
	s_nop 0                                                    // 00000000D9D4: BF800000
	v_cndmask_b32_e64 v144, v69, v144, s[40:41]                // 00000000D9D8: D1000090 00A32145
	v_cmp_le_u32_e64 s[40:41], v241, v41                       // 00000000D9E0: D0CB0028 000253F1
	v_add_u32_e32 v241, 64, v241                               // 00000000D9E8: 69E3E2C0
	s_nop 0                                                    // 00000000D9EC: BF800000
	v_cndmask_b32_e64 v145, v69, v145, s[40:41]                // 00000000D9F0: D1000091 00A32345
	v_cmp_le_u32_e64 s[40:41], v242, v41                       // 00000000D9F8: D0CB0028 000253F2
	v_add_u32_e32 v242, 64, v242                               // 00000000DA00: 69E5E4C0
	s_nop 0                                                    // 00000000DA04: BF800000
	v_cndmask_b32_e64 v146, v69, v146, s[40:41]                // 00000000DA08: D1000092 00A32545
	v_cmp_le_u32_e64 s[40:41], v243, v41                       // 00000000DA10: D0CB0028 000253F3
	v_add_u32_e32 v243, 64, v243                               // 00000000DA18: 69E7E6C0
	s_nop 0                                                    // 00000000DA1C: BF800000
	v_cndmask_b32_e64 v147, v69, v147, s[40:41]                // 00000000DA20: D1000093 00A32745
	v_cmp_le_u32_e64 s[40:41], v240, v41                       // 00000000DA28: D0CB0028 000253F0
	v_add_u32_e32 v240, 64, v240                               // 00000000DA30: 69E1E0C0
	s_nop 0                                                    // 00000000DA34: BF800000
	v_cndmask_b32_e64 v148, v69, v148, s[40:41]                // 00000000DA38: D1000094 00A32945
	v_cmp_le_u32_e64 s[40:41], v241, v41                       // 00000000DA40: D0CB0028 000253F1
	v_add_u32_e32 v241, 64, v241                               // 00000000DA48: 69E3E2C0
	s_nop 0                                                    // 00000000DA4C: BF800000
	v_cndmask_b32_e64 v149, v69, v149, s[40:41]                // 00000000DA50: D1000095 00A32B45
	v_cmp_le_u32_e64 s[40:41], v242, v41                       // 00000000DA58: D0CB0028 000253F2
	v_add_u32_e32 v242, 64, v242                               // 00000000DA60: 69E5E4C0
	s_nop 0                                                    // 00000000DA64: BF800000
	v_cndmask_b32_e64 v150, v69, v150, s[40:41]                // 00000000DA68: D1000096 00A32D45
	v_cmp_le_u32_e64 s[40:41], v243, v41                       // 00000000DA70: D0CB0028 000253F3
	v_add_u32_e32 v243, 64, v243                               // 00000000DA78: 69E7E6C0
	s_nop 0                                                    // 00000000DA7C: BF800000
	v_cndmask_b32_e64 v151, v69, v151, s[40:41]                // 00000000DA80: D1000097 00A32F45
	v_cmp_le_u32_e64 s[40:41], v240, v41                       // 00000000DA88: D0CB0028 000253F0
	v_add_u32_e32 v240, 64, v240                               // 00000000DA90: 69E1E0C0
	s_nop 0                                                    // 00000000DA94: BF800000
	v_cndmask_b32_e64 v152, v69, v152, s[40:41]                // 00000000DA98: D1000098 00A33145
	v_cmp_le_u32_e64 s[40:41], v241, v41                       // 00000000DAA0: D0CB0028 000253F1
	v_add_u32_e32 v241, 64, v241                               // 00000000DAA8: 69E3E2C0
	s_nop 0                                                    // 00000000DAAC: BF800000
	v_cndmask_b32_e64 v153, v69, v153, s[40:41]                // 00000000DAB0: D1000099 00A33345
	v_cmp_le_u32_e64 s[40:41], v242, v41                       // 00000000DAB8: D0CB0028 000253F2
	v_add_u32_e32 v242, 64, v242                               // 00000000DAC0: 69E5E4C0
	s_nop 0                                                    // 00000000DAC4: BF800000
	v_cndmask_b32_e64 v154, v69, v154, s[40:41]                // 00000000DAC8: D100009A 00A33545
	v_cmp_le_u32_e64 s[40:41], v243, v41                       // 00000000DAD0: D0CB0028 000253F3
	v_add_u32_e32 v243, 64, v243                               // 00000000DAD8: 69E7E6C0
	s_nop 0                                                    // 00000000DADC: BF800000
	v_cndmask_b32_e64 v155, v69, v155, s[40:41]                // 00000000DAE0: D100009B 00A33745
	v_cmp_le_u32_e64 s[40:41], v240, v41                       // 00000000DAE8: D0CB0028 000253F0
	v_add_u32_e32 v240, 64, v240                               // 00000000DAF0: 69E1E0C0
	s_nop 0                                                    // 00000000DAF4: BF800000
	v_cndmask_b32_e64 v156, v69, v156, s[40:41]                // 00000000DAF8: D100009C 00A33945
	v_cmp_le_u32_e64 s[40:41], v241, v41                       // 00000000DB00: D0CB0028 000253F1
	v_add_u32_e32 v241, 64, v241                               // 00000000DB08: 69E3E2C0
	s_nop 0                                                    // 00000000DB0C: BF800000
	v_cndmask_b32_e64 v157, v69, v157, s[40:41]                // 00000000DB10: D100009D 00A33B45
	v_cmp_le_u32_e64 s[40:41], v242, v41                       // 00000000DB18: D0CB0028 000253F2
	v_add_u32_e32 v242, 64, v242                               // 00000000DB20: 69E5E4C0
	s_nop 0                                                    // 00000000DB24: BF800000
	v_cndmask_b32_e64 v158, v69, v158, s[40:41]                // 00000000DB28: D100009E 00A33D45
	v_cmp_le_u32_e64 s[40:41], v243, v41                       // 00000000DB30: D0CB0028 000253F3
	v_add_u32_e32 v243, 64, v243                               // 00000000DB38: 69E7E6C0
	s_nop 0                                                    // 00000000DB3C: BF800000
	v_cndmask_b32_e64 v159, v69, v159, s[40:41]                // 00000000DB40: D100009F 00A33F45

000000000000db48 <label_2E52>:
	s_add_u32 s90, s91, s90                                    // 00000000DB48: 805A5A5B
	v_mov_b32_e32 v62, v144                                    // 00000000DB4C: 7E7C0390
	v_max3_f32 v62, v144, v145, v62                            // 00000000DB50: D1D3003E 04FB2390
	v_max3_f32 v62, v146, v147, v62                            // 00000000DB58: D1D3003E 04FB2792
	v_max3_f32 v62, v148, v149, v62                            // 00000000DB60: D1D3003E 04FB2B94
	v_max3_f32 v62, v150, v151, v62                            // 00000000DB68: D1D3003E 04FB2F96
	v_max3_f32 v62, v152, v153, v62                            // 00000000DB70: D1D3003E 04FB3398
	v_max3_f32 v62, v154, v155, v62                            // 00000000DB78: D1D3003E 04FB379A
	v_max3_f32 v62, v156, v157, v62                            // 00000000DB80: D1D3003E 04FB3B9C
	v_max3_f32 v62, v158, v159, v62                            // 00000000DB88: D1D3003E 04FB3F9E
	ds_write_b32 v11, v62 offset:16896                         // 00000000DB90: D81A4200 00003E0B
	v_mul_f32_e32 v232, v64, v232                              // 00000000DB98: 0BD1D140
	v_mul_f32_e32 v233, v64, v233                              // 00000000DB9C: 0BD3D340
	v_mul_f32_e32 v234, v64, v234                              // 00000000DBA0: 0BD5D540
	v_mul_f32_e32 v235, v64, v235                              // 00000000DBA4: 0BD7D740
	v_mul_f32_e32 v236, v64, v236                              // 00000000DBA8: 0BD9D940
	v_mul_f32_e32 v237, v64, v237                              // 00000000DBAC: 0BDBDB40
	v_mul_f32_e32 v238, v64, v238                              // 00000000DBB0: 0BDDDD40
	v_mul_f32_e32 v239, v64, v239                              // 00000000DBB4: 0BDFDF40
	s_waitcnt lgkmcnt(0)                                       // 00000000DBB8: BF8CC07F
	s_barrier                                                  // 00000000DBBC: BF8A0000
	ds_read_b32 v80, v10 offset:16896                          // 00000000DBC0: D86C4200 5000000A
	ds_read_b32 v81, v10 offset:16960                          // 00000000DBC8: D86C4240 5100000A
	ds_read_b32 v82, v10 offset:17024                          // 00000000DBD0: D86C4280 5200000A
	ds_read_b32 v83, v10 offset:17088                          // 00000000DBD8: D86C42C0 5300000A
	ds_read_b32 v84, v10 offset:17152                          // 00000000DBE0: D86C4300 5400000A
	ds_read_b32 v85, v10 offset:17216                          // 00000000DBE8: D86C4340 5500000A
	ds_read_b32 v86, v10 offset:17280                          // 00000000DBF0: D86C4380 5600000A
	ds_read_b32 v87, v10 offset:17344                          // 00000000DBF8: D86C43C0 5700000A
	ds_read_b32 v88, v10 offset:17408                          // 00000000DC00: D86C4400 5800000A
	ds_read_b32 v89, v10 offset:17472                          // 00000000DC08: D86C4440 5900000A
	ds_read_b32 v90, v10 offset:17536                          // 00000000DC10: D86C4480 5A00000A
	ds_read_b32 v91, v10 offset:17600                          // 00000000DC18: D86C44C0 5B00000A
	ds_read_b32 v92, v10 offset:17664                          // 00000000DC20: D86C4500 5C00000A
	ds_read_b32 v93, v10 offset:17728                          // 00000000DC28: D86C4540 5D00000A
	ds_read_b32 v94, v10 offset:17792                          // 00000000DC30: D86C4580 5E00000A
	ds_read_b32 v95, v10 offset:17856                          // 00000000DC38: D86C45C0 5F00000A
	v_cvt_f32_i32_e32 v200, v200                               // 00000000DC40: 7F900BC8
	v_cvt_f32_i32_e32 v201, v201                               // 00000000DC44: 7F920BC9
	v_cvt_f32_i32_e32 v202, v202                               // 00000000DC48: 7F940BCA
	v_cvt_f32_i32_e32 v203, v203                               // 00000000DC4C: 7F960BCB
	v_cvt_f32_i32_e32 v204, v204                               // 00000000DC50: 7F980BCC
	v_cvt_f32_i32_e32 v205, v205                               // 00000000DC54: 7F9A0BCD
	v_cvt_f32_i32_e32 v206, v206                               // 00000000DC58: 7F9C0BCE
	v_cvt_f32_i32_e32 v207, v207                               // 00000000DC5C: 7F9E0BCF
	v_mul_f32_e32 v200, v59, v200                              // 00000000DC60: 0B91913B
	v_mul_f32_e32 v201, v59, v201                              // 00000000DC64: 0B93933B
	v_mul_f32_e32 v202, v59, v202                              // 00000000DC68: 0B95953B
	v_mul_f32_e32 v203, v59, v203                              // 00000000DC6C: 0B97973B
	v_mul_f32_e32 v204, v59, v204                              // 00000000DC70: 0B99993B
	v_mul_f32_e32 v205, v59, v205                              // 00000000DC74: 0B9B9B3B
	v_mul_f32_e32 v206, v59, v206                              // 00000000DC78: 0B9D9D3B
	v_mul_f32_e32 v207, v59, v207                              // 00000000DC7C: 0B9F9F3B
	s_waitcnt lgkmcnt(0)                                       // 00000000DC80: BF8CC07F
	v_max3_f32 v62, v80, v81, v62                              // 00000000DC84: D1D3003E 04FAA350
	v_max3_f32 v62, v82, v83, v62                              // 00000000DC8C: D1D3003E 04FAA752
	v_max3_f32 v62, v84, v85, v62                              // 00000000DC94: D1D3003E 04FAAB54
	v_max3_f32 v62, v86, v87, v62                              // 00000000DC9C: D1D3003E 04FAAF56
	v_max3_f32 v62, v88, v89, v62                              // 00000000DCA4: D1D3003E 04FAB358
	v_max3_f32 v62, v90, v91, v62                              // 00000000DCAC: D1D3003E 04FAB75A
	v_max3_f32 v62, v92, v93, v62                              // 00000000DCB4: D1D3003E 04FABB5C
	v_max3_f32 v62, v94, v95, v62                              // 00000000DCBC: D1D3003E 04FABF5E
	v_mov_b32_e32 v41, 0xff800000                              // 00000000DCC4: 7E5202FF FF800000
	v_cmp_eq_u32_e64 s[40:41], v41, v15                        // 00000000DCCC: D0CA0028 00021F29
	s_nop 1                                                    // 00000000DCD4: BF800001
	v_max_f32_e32 v18, v62, v15                                // 00000000DCD8: 16241F3E
	v_mul_f32_e32 v67, s64, v18                                // 00000000DCDC: 0A862440
	v_fma_f32 v144, v144, s64, -v67                            // 00000000DCE0: D1CB0090 850C8190
	v_fma_f32 v145, v145, s64, -v67                            // 00000000DCE8: D1CB0091 850C8191
	v_fma_f32 v146, v146, s64, -v67                            // 00000000DCF0: D1CB0092 850C8192
	v_fma_f32 v147, v147, s64, -v67                            // 00000000DCF8: D1CB0093 850C8193
	v_fma_f32 v148, v148, s64, -v67                            // 00000000DD00: D1CB0094 850C8194
	v_fma_f32 v149, v149, s64, -v67                            // 00000000DD08: D1CB0095 850C8195
	v_fma_f32 v150, v150, s64, -v67                            // 00000000DD10: D1CB0096 850C8196
	v_fma_f32 v151, v151, s64, -v67                            // 00000000DD18: D1CB0097 850C8197
	v_fma_f32 v152, v152, s64, -v67                            // 00000000DD20: D1CB0098 850C8198
	v_fma_f32 v153, v153, s64, -v67                            // 00000000DD28: D1CB0099 850C8199
	v_fma_f32 v154, v154, s64, -v67                            // 00000000DD30: D1CB009A 850C819A
	v_fma_f32 v155, v155, s64, -v67                            // 00000000DD38: D1CB009B 850C819B
	v_fma_f32 v156, v156, s64, -v67                            // 00000000DD40: D1CB009C 850C819C
	v_fma_f32 v157, v157, s64, -v67                            // 00000000DD48: D1CB009D 850C819D
	v_fma_f32 v158, v158, s64, -v67                            // 00000000DD50: D1CB009E 850C819E
	v_fma_f32 v159, v159, s64, -v67                            // 00000000DD58: D1CB009F 850C819F
	v_exp_f32_e32 v144, v144                                   // 00000000DD60: 7F204190
	v_exp_f32_e32 v145, v145                                   // 00000000DD64: 7F224191
	v_exp_f32_e32 v146, v146                                   // 00000000DD68: 7F244192
	v_exp_f32_e32 v147, v147                                   // 00000000DD6C: 7F264193
	v_exp_f32_e32 v148, v148                                   // 00000000DD70: 7F284194
	v_exp_f32_e32 v149, v149                                   // 00000000DD74: 7F2A4195
	v_exp_f32_e32 v150, v150                                   // 00000000DD78: 7F2C4196
	v_exp_f32_e32 v151, v151                                   // 00000000DD7C: 7F2E4197
	v_exp_f32_e32 v152, v152                                   // 00000000DD80: 7F304198
	v_exp_f32_e32 v153, v153                                   // 00000000DD84: 7F324199
	v_exp_f32_e32 v154, v154                                   // 00000000DD88: 7F34419A
	v_exp_f32_e32 v155, v155                                   // 00000000DD8C: 7F36419B
	v_exp_f32_e32 v156, v156                                   // 00000000DD90: 7F38419C
	v_exp_f32_e32 v157, v157                                   // 00000000DD94: 7F3A419D
	v_exp_f32_e32 v158, v158                                   // 00000000DD98: 7F3C419E
	v_exp_f32_e32 v159, v159                                   // 00000000DD9C: 7F3E419F
	v_mul_f32_dpp v240, v252, v144 quad_perm:[0,0,0,0] row_mask:0xf bank_mask:0xf// 00000000DDA0: 0BE120FA FF0000FC
	v_mul_f32_dpp v241, v252, v145 quad_perm:[1,1,1,1] row_mask:0xf bank_mask:0xf// 00000000DDA8: 0BE322FA FF0055FC
	v_mul_f32_dpp v242, v252, v146 quad_perm:[2,2,2,2] row_mask:0xf bank_mask:0xf// 00000000DDB0: 0BE524FA FF00AAFC
	v_mul_f32_dpp v243, v252, v147 quad_perm:[3,3,3,3] row_mask:0xf bank_mask:0xf// 00000000DDB8: 0BE726FA FF00FFFC
	v_mul_f32_dpp v244, v253, v148 quad_perm:[0,0,0,0] row_mask:0xf bank_mask:0xf// 00000000DDC0: 0BE928FA FF0000FD
	v_mul_f32_dpp v245, v253, v149 quad_perm:[1,1,1,1] row_mask:0xf bank_mask:0xf// 00000000DDC8: 0BEB2AFA FF0055FD
	v_mul_f32_dpp v246, v253, v150 quad_perm:[2,2,2,2] row_mask:0xf bank_mask:0xf// 00000000DDD0: 0BED2CFA FF00AAFD
	v_mul_f32_dpp v247, v253, v151 quad_perm:[3,3,3,3] row_mask:0xf bank_mask:0xf// 00000000DDD8: 0BEF2EFA FF00FFFD
	v_mul_f32_dpp v248, v254, v152 quad_perm:[0,0,0,0] row_mask:0xf bank_mask:0xf// 00000000DDE0: 0BF130FA FF0000FE
	v_mul_f32_dpp v249, v254, v153 quad_perm:[1,1,1,1] row_mask:0xf bank_mask:0xf// 00000000DDE8: 0BF332FA FF0055FE
	v_mul_f32_dpp v250, v254, v154 quad_perm:[2,2,2,2] row_mask:0xf bank_mask:0xf// 00000000DDF0: 0BF534FA FF00AAFE
	v_mul_f32_dpp v251, v254, v155 quad_perm:[3,3,3,3] row_mask:0xf bank_mask:0xf// 00000000DDF8: 0BF736FA FF00FFFE
	v_mul_f32_dpp v252, v255, v156 quad_perm:[0,0,0,0] row_mask:0xf bank_mask:0xf// 00000000DE00: 0BF938FA FF0000FF
	v_mul_f32_dpp v253, v255, v157 quad_perm:[1,1,1,1] row_mask:0xf bank_mask:0xf// 00000000DE08: 0BFB3AFA FF0055FF
	v_mul_f32_dpp v254, v255, v158 quad_perm:[2,2,2,2] row_mask:0xf bank_mask:0xf// 00000000DE10: 0BFD3CFA FF00AAFF
	v_mul_f32_dpp v255, v255, v159 quad_perm:[3,3,3,3] row_mask:0xf bank_mask:0xf// 00000000DE18: 0BFF3EFA FF00FFFF
	v_mov_b32_e32 v62, 0x358637bd                              // 00000000DE20: 7E7C02FF 358637BD
	v_max3_f32 v62, |v240|, |v241|, v62                        // 00000000DE28: D1D3033E 04FBE3F0
	v_max3_f32 v62, |v242|, |v243|, v62                        // 00000000DE30: D1D3033E 04FBE7F2
	v_max3_f32 v62, |v244|, |v245|, v62                        // 00000000DE38: D1D3033E 04FBEBF4
	v_max3_f32 v62, |v246|, |v247|, v62                        // 00000000DE40: D1D3033E 04FBEFF6
	v_max3_f32 v62, |v248|, |v249|, v62                        // 00000000DE48: D1D3033E 04FBF3F8
	v_max3_f32 v62, |v250|, |v251|, v62                        // 00000000DE50: D1D3033E 04FBF7FA
	v_max3_f32 v62, |v252|, |v253|, v62                        // 00000000DE58: D1D3033E 04FBFBFC
	v_max3_f32 v62, |v254|, |v255|, v62                        // 00000000DE60: D1D3033E 04FBFFFE
	ds_write_b32 v11, v62 offset:20992                         // 00000000DE68: D81A5200 00003E0B
	v_sub_f32_e32 v64, v15, v18                                // 00000000DE70: 0480250F
	v_cndmask_b32_e64 v64, v64, 0, s[40:41]                    // 00000000DE74: D1000040 00A10140
	v_mov_b32_e32 v15, v18                                     // 00000000DE7C: 7E1E0312
	v_mul_f32_e32 v64, s64, v64                                // 00000000DE80: 0A808040
	v_exp_f32_e32 v64, v64                                     // 00000000DE84: 7E804140
	s_waitcnt lgkmcnt(0)                                       // 00000000DE88: BF8CC07F
	s_barrier                                                  // 00000000DE8C: BF8A0000
	ds_read_b32 v80, v10 offset:20992                          // 00000000DE90: D86C5200 5000000A
	ds_read_b32 v81, v10 offset:21056                          // 00000000DE98: D86C5240 5100000A
	ds_read_b32 v82, v10 offset:21120                          // 00000000DEA0: D86C5280 5200000A
	ds_read_b32 v83, v10 offset:21184                          // 00000000DEA8: D86C52C0 5300000A
	ds_read_b32 v84, v10 offset:21248                          // 00000000DEB0: D86C5300 5400000A
	ds_read_b32 v85, v10 offset:21312                          // 00000000DEB8: D86C5340 5500000A
	ds_read_b32 v86, v10 offset:21376                          // 00000000DEC0: D86C5380 5600000A
	ds_read_b32 v87, v10 offset:21440                          // 00000000DEC8: D86C53C0 5700000A
	ds_read_b32 v88, v10 offset:21504                          // 00000000DED0: D86C5400 5800000A
	ds_read_b32 v89, v10 offset:21568                          // 00000000DED8: D86C5440 5900000A
	ds_read_b32 v90, v10 offset:21632                          // 00000000DEE0: D86C5480 5A00000A
	ds_read_b32 v91, v10 offset:21696                          // 00000000DEE8: D86C54C0 5B00000A
	ds_read_b32 v92, v10 offset:21760                          // 00000000DEF0: D86C5500 5C00000A
	ds_read_b32 v93, v10 offset:21824                          // 00000000DEF8: D86C5540 5D00000A
	ds_read_b32 v94, v10 offset:21888                          // 00000000DF00: D86C5580 5E00000A
	ds_read_b32 v95, v10 offset:21952                          // 00000000DF08: D86C55C0 5F00000A
	v_mul_f32_e32 v48, v64, v48                                // 00000000DF10: 0A606140
	v_mov_b32_e32 v18, v144                                    // 00000000DF14: 7E240390
	v_add_f32_e32 v18, v145, v18                               // 00000000DF18: 02242591
	v_add_f32_e32 v18, v146, v18                               // 00000000DF1C: 02242592
	v_add_f32_e32 v18, v147, v18                               // 00000000DF20: 02242593
	v_add_f32_e32 v18, v148, v18                               // 00000000DF24: 02242594
	v_add_f32_e32 v18, v149, v18                               // 00000000DF28: 02242595
	v_add_f32_e32 v18, v150, v18                               // 00000000DF2C: 02242596
	v_add_f32_e32 v18, v151, v18                               // 00000000DF30: 02242597
	v_add_f32_e32 v18, v152, v18                               // 00000000DF34: 02242598
	v_add_f32_e32 v18, v153, v18                               // 00000000DF38: 02242599
	v_add_f32_e32 v18, v154, v18                               // 00000000DF3C: 0224259A
	v_add_f32_e32 v18, v155, v18                               // 00000000DF40: 0224259B
	v_add_f32_e32 v18, v156, v18                               // 00000000DF44: 0224259C
	v_add_f32_e32 v18, v157, v18                               // 00000000DF48: 0224259D
	v_add_f32_e32 v18, v158, v18                               // 00000000DF4C: 0224259E
	v_add_f32_e32 v18, v159, v18                               // 00000000DF50: 0224259F
	v_add_f32_e32 v48, v18, v48                                // 00000000DF54: 02606112
	s_waitcnt lgkmcnt(0)                                       // 00000000DF58: BF8CC07F
	v_max3_f32 v62, |v80|, |v81|, v62                          // 00000000DF5C: D1D3033E 04FAA350
	v_max3_f32 v62, |v82|, |v83|, v62                          // 00000000DF64: D1D3033E 04FAA752
	v_max3_f32 v62, |v84|, |v85|, v62                          // 00000000DF6C: D1D3033E 04FAAB54
	v_max3_f32 v62, |v86|, |v87|, v62                          // 00000000DF74: D1D3033E 04FAAF56
	v_max3_f32 v62, |v88|, |v89|, v62                          // 00000000DF7C: D1D3033E 04FAB358
	v_max3_f32 v62, |v90|, |v91|, v62                          // 00000000DF84: D1D3033E 04FAB75A
	v_max3_f32 v62, |v92|, |v93|, v62                          // 00000000DF8C: D1D3033E 04FABB5C
	v_max3_f32 v62, |v94|, |v95|, v62                          // 00000000DF94: D1D3033E 04FABF5E
	s_nop 2                                                    // 00000000DF9C: BF800002
	v_rcp_f32_e32 v62, v62                                     // 00000000DFA0: 7E7C453E
	s_nop 1                                                    // 00000000DFA4: BF800001
	v_mul_f32_e32 v62, 0x42fe0000, v62                         // 00000000DFA8: 0A7C7CFF 42FE0000
	v_mul_f32_e32 v144, v62, v240                              // 00000000DFB0: 0B21E13E
	v_mul_f32_e32 v145, v62, v241                              // 00000000DFB4: 0B23E33E
	v_mul_f32_e32 v146, v62, v242                              // 00000000DFB8: 0B25E53E
	v_mul_f32_e32 v147, v62, v243                              // 00000000DFBC: 0B27E73E
	v_mul_f32_e32 v148, v62, v244                              // 00000000DFC0: 0B29E93E
	v_mul_f32_e32 v149, v62, v245                              // 00000000DFC4: 0B2BEB3E
	v_mul_f32_e32 v150, v62, v246                              // 00000000DFC8: 0B2DED3E
	v_mul_f32_e32 v151, v62, v247                              // 00000000DFCC: 0B2FEF3E
	v_mul_f32_e32 v152, v62, v248                              // 00000000DFD0: 0B31F13E
	v_mul_f32_e32 v153, v62, v249                              // 00000000DFD4: 0B33F33E
	v_mul_f32_e32 v154, v62, v250                              // 00000000DFD8: 0B35F53E
	v_mul_f32_e32 v155, v62, v251                              // 00000000DFDC: 0B37F73E
	v_mul_f32_e32 v156, v62, v252                              // 00000000DFE0: 0B39F93E
	v_mul_f32_e32 v157, v62, v253                              // 00000000DFE4: 0B3BFB3E
	v_mul_f32_e32 v158, v62, v254                              // 00000000DFE8: 0B3DFD3E
	v_mul_f32_e32 v159, v62, v255                              // 00000000DFEC: 0B3FFF3E
	v_cvt_i32_f32_e32 v144, v144                               // 00000000DFF0: 7F201190
	v_cvt_i32_f32_e32 v145, v145                               // 00000000DFF4: 7F221191
	v_cvt_i32_f32_e32 v146, v146                               // 00000000DFF8: 7F241192
	v_cvt_i32_f32_e32 v147, v147                               // 00000000DFFC: 7F261193
	v_cvt_i32_f32_e32 v148, v148                               // 00000000E000: 7F281194
	v_cvt_i32_f32_e32 v149, v149                               // 00000000E004: 7F2A1195
	v_cvt_i32_f32_e32 v150, v150                               // 00000000E008: 7F2C1196
	v_cvt_i32_f32_e32 v151, v151                               // 00000000E00C: 7F2E1197
	v_cvt_i32_f32_e32 v152, v152                               // 00000000E010: 7F301198
	v_cvt_i32_f32_e32 v153, v153                               // 00000000E014: 7F321199
	v_cvt_i32_f32_e32 v154, v154                               // 00000000E018: 7F34119A
	v_cvt_i32_f32_e32 v155, v155                               // 00000000E01C: 7F36119B
	v_cvt_i32_f32_e32 v156, v156                               // 00000000E020: 7F38119C
	v_cvt_i32_f32_e32 v157, v157                               // 00000000E024: 7F3A119D
	v_cvt_i32_f32_e32 v158, v158                               // 00000000E028: 7F3C119E
	v_cvt_i32_f32_e32 v159, v159                               // 00000000E02C: 7F3E119F
	v_perm_b32 v144, v145, v144, s53                           // 00000000E030: D1ED0090 00D72191
	v_perm_b32 v144, v146, v144, s54                           // 00000000E038: D1ED0090 00DB2192
	v_perm_b32 v144, v147, v144, s55                           // 00000000E040: D1ED0090 00DF2193
	v_perm_b32 v145, v149, v148, s53                           // 00000000E048: D1ED0091 00D72995
	v_perm_b32 v145, v150, v145, s54                           // 00000000E050: D1ED0091 00DB2396
	v_perm_b32 v145, v151, v145, s55                           // 00000000E058: D1ED0091 00DF2397
	v_perm_b32 v146, v153, v152, s53                           // 00000000E060: D1ED0092 00D73199
	v_perm_b32 v146, v154, v146, s54                           // 00000000E068: D1ED0092 00DB259A
	v_perm_b32 v146, v155, v146, s55                           // 00000000E070: D1ED0092 00DF259B
	v_perm_b32 v147, v157, v156, s53                           // 00000000E078: D1ED0093 00D7399D
	v_perm_b32 v147, v158, v147, s54                           // 00000000E080: D1ED0093 00DB279E
	v_perm_b32 v147, v159, v147, s55                           // 00000000E088: D1ED0093 00DF279F
	ds_write_b32 v13, v144 offset:29184                        // 00000000E090: D81A7200 0000900D
	ds_write_b32 v13, v145 offset:30208                        // 00000000E098: D81A7600 0000910D
	ds_write_b32 v13, v146 offset:31232                        // 00000000E0A0: D81A7A00 0000920D
	ds_write_b32 v13, v147 offset:32256                        // 00000000E0A8: D81A7E00 0000930D
	v_add_f32_e32 v232, v232, v200                             // 00000000E0B0: 03D191E8
	v_add_f32_e32 v233, v233, v201                             // 00000000E0B4: 03D393E9
	v_add_f32_e32 v234, v234, v202                             // 00000000E0B8: 03D595EA
	v_add_f32_e32 v235, v235, v203                             // 00000000E0BC: 03D797EB
	v_add_f32_e32 v236, v236, v204                             // 00000000E0C0: 03D999EC
	v_add_f32_e32 v237, v237, v205                             // 00000000E0C4: 03DB9BED
	v_add_f32_e32 v238, v238, v206                             // 00000000E0C8: 03DD9DEE
	v_add_f32_e32 v239, v239, v207                             // 00000000E0CC: 03DF9FEF
	v_rcp_f32_e32 v59, v62                                     // 00000000E0D0: 7E76453E
	s_waitcnt lgkmcnt(0)                                       // 00000000E0D4: BF8CC07F
	s_barrier                                                  // 00000000E0D8: BF8A0000
	ds_read_b64 v[144:145], v12 offset:29184                   // 00000000E0DC: D8EC7200 9000000C
	ds_read_b64 v[146:147], v12 offset:29312                   // 00000000E0E4: D8EC7280 9200000C
	ds_read_b64 v[148:149], v12 offset:30208                   // 00000000E0EC: D8EC7600 9400000C
	ds_read_b64 v[150:151], v12 offset:30336                   // 00000000E0F4: D8EC7680 9600000C
	ds_read_b64 v[152:153], v12 offset:31232                   // 00000000E0FC: D8EC7A00 9800000C
	ds_read_b64 v[154:155], v12 offset:31360                   // 00000000E104: D8EC7A80 9A00000C
	ds_read_b64 v[156:157], v12 offset:32256                   // 00000000E10C: D8EC7E00 9C00000C
	ds_read_b64 v[158:159], v12 offset:32384                   // 00000000E114: D8EC7E80 9E00000C
	s_waitcnt vmcnt(15)                                        // 00000000E11C: BF8C0F7F
	v_mfma_i32_16x16x32_i8 v[192:195], a[96:97], v[128:129], 0 // 00000000E120: D3D700C0 0A030160
	v_mfma_i32_16x16x32_i8 v[192:195], a[98:99], v[130:131], v[192:195]// 00000000E128: D3D700C0 0F030562
	buffer_load_dwordx4 a[80:83], v33, s[20:23], 0 offen offset:1024// 00000000E130: E05C1400 80855021
	v_mfma_i32_16x16x32_i8 v[192:195], a[100:101], v[132:133], v[192:195]// 00000000E138: D3D700C0 0F030964
	v_mfma_i32_16x16x32_i8 v[192:195], a[102:103], v[134:135], v[192:195]// 00000000E140: D3D700C0 0F030D66
	v_mfma_i32_16x16x32_i8 v[192:195], a[104:105], v[136:137], v[192:195]// 00000000E148: D3D700C0 0F031168
	v_mfma_i32_16x16x32_i8 v[192:195], a[106:107], v[138:139], v[192:195]// 00000000E150: D3D700C0 0F03156A
	buffer_load_dwordx4 a[84:87], v34, s[20:23], 0 offen offset:1024// 00000000E158: E05C1400 80855422
	v_mfma_i32_16x16x32_i8 v[192:195], a[108:109], v[140:141], v[192:195]// 00000000E160: D3D700C0 0F03196C
	v_mfma_i32_16x16x32_i8 v[192:195], a[110:111], v[142:143], v[192:195]// 00000000E168: D3D700C0 0F031D6E
	v_mfma_i32_16x16x32_i8 v[196:199], a[112:113], v[128:129], 0// 00000000E170: D3D700C4 0A030170
	v_mfma_i32_16x16x32_i8 v[196:199], a[114:115], v[130:131], v[196:199]// 00000000E178: D3D700C4 0F130572
	buffer_load_dwordx4 a[88:91], v35, s[20:23], 0 offen offset:1024// 00000000E180: E05C1400 80855823
	v_mfma_i32_16x16x32_i8 v[196:199], a[116:117], v[132:133], v[196:199]// 00000000E188: D3D700C4 0F130974
	v_mfma_i32_16x16x32_i8 v[196:199], a[118:119], v[134:135], v[196:199]// 00000000E190: D3D700C4 0F130D76
	v_mfma_i32_16x16x32_i8 v[196:199], a[120:121], v[136:137], v[196:199]// 00000000E198: D3D700C4 0F131178
	v_mfma_i32_16x16x32_i8 v[196:199], a[122:123], v[138:139], v[196:199]// 00000000E1A0: D3D700C4 0F13157A
	buffer_load_dwordx4 a[92:95], v36, s[20:23], 0 offen offset:1024// 00000000E1A8: E05C1400 80855C24
	v_mfma_i32_16x16x32_i8 v[196:199], a[124:125], v[140:141], v[196:199]// 00000000E1B0: D3D700C4 0F13197C
	s_lshr_b32 s57, s70, 4                                     // 00000000E1B8: 8F398446
	s_add_u32 s57, 48, s57                                     // 00000000E1BC: 803939B0
	v_mfma_i32_16x16x32_i8 v[196:199], a[126:127], v[142:143], v[196:199]// 00000000E1C0: D3D700C4 0F131D7E
	s_cmp_ge_u32 s57, s73                                      // 00000000E1C8: BF094939
	s_cselect_b32 s56, 0, s56                                  // 00000000E1CC: 85383880
	v_mfma_i32_16x16x32_i8 v[200:203], a[96:97], v[144:145], 0 // 00000000E1D0: D3D700C8 0A032160
	v_mfma_i32_16x16x32_i8 v[200:203], a[98:99], v[146:147], v[200:203]// 00000000E1D8: D3D700C8 0F232562
	v_mfma_i32_16x16x32_i8 v[200:203], a[100:101], v[148:149], v[200:203]// 00000000E1E0: D3D700C8 0F232964
	v_mfma_i32_16x16x32_i8 v[200:203], a[102:103], v[150:151], v[200:203]// 00000000E1E8: D3D700C8 0F232D66
	v_mfma_i32_16x16x32_i8 v[200:203], a[104:105], v[152:153], v[200:203]// 00000000E1F0: D3D700C8 0F233168
	v_mfma_i32_16x16x32_i8 v[200:203], a[106:107], v[154:155], v[200:203]// 00000000E1F8: D3D700C8 0F23356A
	v_mfma_i32_16x16x32_i8 v[200:203], a[108:109], v[156:157], v[200:203]// 00000000E200: D3D700C8 0F23396C
	v_mfma_i32_16x16x32_i8 v[200:203], a[110:111], v[158:159], v[200:203]// 00000000E208: D3D700C8 0F233D6E
	v_mfma_i32_16x16x32_i8 v[204:207], a[112:113], v[144:145], 0// 00000000E210: D3D700CC 0A032170
	v_mfma_i32_16x16x32_i8 v[204:207], a[114:115], v[146:147], v[204:207]// 00000000E218: D3D700CC 0F332572
	v_mfma_i32_16x16x32_i8 v[204:207], a[116:117], v[148:149], v[204:207]// 00000000E220: D3D700CC 0F332974
	v_mfma_i32_16x16x32_i8 v[204:207], a[118:119], v[150:151], v[204:207]// 00000000E228: D3D700CC 0F332D76
	v_mfma_i32_16x16x32_i8 v[204:207], a[120:121], v[152:153], v[204:207]// 00000000E230: D3D700CC 0F333178
	v_mfma_i32_16x16x32_i8 v[204:207], a[122:123], v[154:155], v[204:207]// 00000000E238: D3D700CC 0F33357A
	v_mfma_i32_16x16x32_i8 v[204:207], a[124:125], v[156:157], v[204:207]// 00000000E240: D3D700CC 0F33397C
	v_mfma_i32_16x16x32_i8 v[204:207], a[126:127], v[158:159], v[204:207]// 00000000E248: D3D700CC 0F333D7E
	v_add_u32_e32 v1, s56, v1                                  // 00000000E250: 68020238
	s_addk_i32 s70, 0x100                                      // 00000000E254: B7460100
	s_cmp_lt_i32 s70, s71                                      // 00000000E258: BF044746
	s_cbranch_scc0 label_3019                                  // 00000000E25C: BF840001
	s_branch label_2506                                        // 00000000E260: BF82F4ED

000000000000e264 <label_3019>:
	s_nop 0                                                    // 00000000E264: BF800000
	s_nop 0                                                    // 00000000E268: BF800000
	s_branch label_3B2F                                        // 00000000E26C: BF820B13

000000000000e270 <label_301C>:
	s_waitcnt vmcnt(8) lgkmcnt(0)                              // 00000000E270: BF8C0078
	v_mul_u32_u24_dpp v41, v20, v68 row_newbcast:0 row_mask:0xf bank_mask:0xf// 00000000E274: 105288FA FF015014
	v_mul_u32_u24_dpp v42, v20, v68 row_newbcast:4 row_mask:0xf bank_mask:0xf// 00000000E27C: 105488FA FF015414
	v_mul_u32_u24_dpp v43, v20, v68 row_newbcast:8 row_mask:0xf bank_mask:0xf// 00000000E284: 105688FA FF015814
	v_mul_u32_u24_dpp v44, v20, v68 row_newbcast:12 row_mask:0xf bank_mask:0xf// 00000000E28C: 105888FA FF015C14
	v_add_u32_e32 v29, v41, v6                                 // 00000000E294: 683A0D29
	v_add_u32_e32 v30, v42, v6                                 // 00000000E298: 683C0D2A
	v_add_u32_e32 v31, v43, v6                                 // 00000000E29C: 683E0D2B
	v_add_u32_e32 v32, v44, v6                                 // 00000000E2A0: 68400D2C
	v_mul_u32_u24_dpp v41, v20, v78 quad_perm:[0,0,0,0] row_mask:0xf bank_mask:0xf// 00000000E2A4: 10529CFA FF000014
	v_add_u32_e32 v3, v41, v74                                 // 00000000E2AC: 68069529
	v_mul_u32_u24_dpp v41, v20, v78 quad_perm:[0,0,0,0] row_mask:0xf bank_mask:0xf// 00000000E2B0: 10529CFA FF000014
	v_add_u32_e32 v71, v41, v75                                // 00000000E2B8: 688E9729
	v_mfma_i32_16x16x32_i8 v[128:131], a[0:1], v[96:97], 0     // 00000000E2BC: D3D70080 0A02C100
	buffer_load_dwordx4 a[32:35], v29, s[16:19], 0 offen       // 00000000E2C4: E05C1000 8084201D
	v_mfma_i32_16x16x32_i8 v[128:131], a[2:3], v[98:99], v[128:131]// 00000000E2CC: D3D70080 0E02C502
	v_mfma_i32_16x16x32_i8 v[128:131], a[4:5], v[100:101], v[128:131]// 00000000E2D4: D3D70080 0E02C904
	buffer_load_dword v19, v1, s[24:27], 0 offen               // 00000000E2DC: E0501000 80061301
	v_mfma_i32_16x16x32_i8 v[128:131], a[6:7], v[102:103], v[128:131]// 00000000E2E4: D3D70080 0E02CD06
	v_mfma_i32_16x16x32_i8 v[132:135], a[8:9], v[96:97], 0     // 00000000E2EC: D3D70084 0A02C108
	buffer_load_dwordx4 a[36:39], v29, s[16:19], 0 offen offset:1024// 00000000E2F4: E05C1400 8084241D
	v_mfma_i32_16x16x32_i8 v[132:135], a[10:11], v[98:99], v[132:135]// 00000000E2FC: D3D70084 0E12C50A
	v_mfma_i32_16x16x32_i8 v[132:135], a[12:13], v[100:101], v[132:135]// 00000000E304: D3D70084 0E12C90C
	v_mfma_i32_16x16x32_i8 v[132:135], a[14:15], v[102:103], v[132:135]// 00000000E30C: D3D70084 0E12CD0E
	v_mfma_i32_16x16x32_i8 v[136:139], a[16:17], v[96:97], 0   // 00000000E314: D3D70088 0A02C110
	buffer_load_dwordx4 a[40:43], v30, s[16:19], 0 offen       // 00000000E31C: E05C1000 8084281E
	v_mfma_i32_16x16x32_i8 v[136:139], a[18:19], v[98:99], v[136:139]// 00000000E324: D3D70088 0E22C512
	v_mfma_i32_16x16x32_i8 v[136:139], a[20:21], v[100:101], v[136:139]// 00000000E32C: D3D70088 0E22C914
	v_mfma_i32_16x16x32_i8 v[136:139], a[22:23], v[102:103], v[136:139]// 00000000E334: D3D70088 0E22CD16
	v_mfma_i32_16x16x32_i8 v[140:143], a[24:25], v[96:97], 0   // 00000000E33C: D3D7008C 0A02C118
	buffer_load_dwordx4 a[44:47], v30, s[16:19], 0 offen offset:1024// 00000000E344: E05C1400 80842C1E
	v_mfma_i32_16x16x32_i8 v[140:143], a[26:27], v[98:99], v[140:143]// 00000000E34C: D3D7008C 0E32C51A
	v_mfma_i32_16x16x32_i8 v[140:143], a[28:29], v[100:101], v[140:143]// 00000000E354: D3D7008C 0E32C91C
	v_mfma_i32_16x16x32_i8 v[140:143], a[30:31], v[102:103], v[140:143]// 00000000E35C: D3D7008C 0E32CD1E
	v_mfma_i32_16x16x32_i8 v[144:147], a[0:1], v[104:105], 0   // 00000000E364: D3D70090 0A02D100
	v_mfma_i32_16x16x32_i8 v[144:147], a[2:3], v[106:107], v[144:147]// 00000000E36C: D3D70090 0E42D502
	v_mfma_i32_16x16x32_i8 v[144:147], a[4:5], v[108:109], v[144:147]// 00000000E374: D3D70090 0E42D904
	v_mfma_i32_16x16x32_i8 v[144:147], a[6:7], v[110:111], v[144:147]// 00000000E37C: D3D70090 0E42DD06
	v_mfma_i32_16x16x32_i8 v[148:151], a[8:9], v[104:105], 0   // 00000000E384: D3D70094 0A02D108
	v_mfma_i32_16x16x32_i8 v[148:151], a[10:11], v[106:107], v[148:151]// 00000000E38C: D3D70094 0E52D50A
	v_mfma_i32_16x16x32_i8 v[148:151], a[12:13], v[108:109], v[148:151]// 00000000E394: D3D70094 0E52D90C
	v_mfma_i32_16x16x32_i8 v[148:151], a[14:15], v[110:111], v[148:151]// 00000000E39C: D3D70094 0E52DD0E
	v_mfma_i32_16x16x32_i8 v[152:155], a[16:17], v[104:105], 0 // 00000000E3A4: D3D70098 0A02D110
	v_mfma_i32_16x16x32_i8 v[152:155], a[18:19], v[106:107], v[152:155]// 00000000E3AC: D3D70098 0E62D512
	v_mfma_i32_16x16x32_i8 v[152:155], a[20:21], v[108:109], v[152:155]// 00000000E3B4: D3D70098 0E62D914
	v_mfma_i32_16x16x32_i8 v[152:155], a[22:23], v[110:111], v[152:155]// 00000000E3BC: D3D70098 0E62DD16
	v_mfma_i32_16x16x32_i8 v[156:159], a[24:25], v[104:105], 0 // 00000000E3C4: D3D7009C 0A02D118
	v_mfma_i32_16x16x32_i8 v[156:159], a[26:27], v[106:107], v[156:159]// 00000000E3CC: D3D7009C 0E72D51A
	v_mfma_i32_16x16x32_i8 v[156:159], a[28:29], v[108:109], v[156:159]// 00000000E3D4: D3D7009C 0E72D91C
	v_mfma_i32_16x16x32_i8 v[156:159], a[30:31], v[110:111], v[156:159]// 00000000E3DC: D3D7009C 0E72DD1E
	buffer_load_dword v53, v3, s[32:35], 0 offen               // 00000000E3E4: E0501000 80083503
	v_mov_b32_dpp v41, v52 row_shr:4 row_mask:0xf bank_mask:0xf// 00000000E3EC: 7E5202FA FF011434
	v_mov_b32_dpp v42, v52 row_shl:4 row_mask:0xf bank_mask:0xf// 00000000E3F4: 7E5402FA FF010434
	v_cndmask_b32_e64 v248, v52, v41, s[44:45]                 // 00000000E3FC: D10000F8 00B25334
	v_cndmask_b32_e64 v249, v42, v52, s[44:45]                 // 00000000E404: D10000F9 00B2692A
	v_mov_b32_dpp v41, v248 row_shr:8 row_mask:0xf bank_mask:0xf// 00000000E40C: 7E5202FA FF0118F8
	v_mov_b32_dpp v42, v248 row_shl:8 row_mask:0xf bank_mask:0xf// 00000000E414: 7E5402FA FF0108F8
	v_mov_b32_dpp v43, v249 row_shr:8 row_mask:0xf bank_mask:0xf// 00000000E41C: 7E5602FA FF0118F9
	v_mov_b32_dpp v44, v249 row_shl:8 row_mask:0xf bank_mask:0xf// 00000000E424: 7E5802FA FF0108F9
	v_mov_b32_e32 v45, v248                                    // 00000000E42C: 7E5A03F8
	v_mov_b32_e32 v46, v249                                    // 00000000E430: 7E5C03F9
	v_cndmask_b32_e64 v248, v45, v41, s[42:43]                 // 00000000E434: D10000F8 00AA532D
	v_cndmask_b32_e64 v250, v45, v42, s[78:79]                 // 00000000E43C: D10000FA 013A552D
	v_cndmask_b32_e64 v249, v46, v43, s[42:43]                 // 00000000E444: D10000F9 00AA572E
	v_cndmask_b32_e64 v251, v46, v44, s[78:79]                 // 00000000E44C: D10000FB 013A592E
	v_mov_b32_dpp v41, v72 row_shr:4 row_mask:0xf bank_mask:0xf// 00000000E454: 7E5202FA FF011448
	v_mov_b32_dpp v42, v72 row_shl:4 row_mask:0xf bank_mask:0xf// 00000000E45C: 7E5402FA FF010448
	v_cndmask_b32_e64 v252, v72, v41, s[44:45]                 // 00000000E464: D10000FC 00B25348
	v_cndmask_b32_e64 v253, v42, v72, s[44:45]                 // 00000000E46C: D10000FD 00B2912A
	v_mov_b32_dpp v41, v252 row_shr:8 row_mask:0xf bank_mask:0xf// 00000000E474: 7E5202FA FF0118FC
	v_mov_b32_dpp v42, v252 row_shl:8 row_mask:0xf bank_mask:0xf// 00000000E47C: 7E5402FA FF0108FC
	v_mov_b32_dpp v43, v253 row_shr:8 row_mask:0xf bank_mask:0xf// 00000000E484: 7E5602FA FF0118FD
	v_mov_b32_dpp v44, v253 row_shl:8 row_mask:0xf bank_mask:0xf// 00000000E48C: 7E5802FA FF0108FD
	v_mov_b32_e32 v45, v252                                    // 00000000E494: 7E5A03FC
	v_mov_b32_e32 v46, v253                                    // 00000000E498: 7E5C03FD
	v_cndmask_b32_e64 v252, v45, v41, s[42:43]                 // 00000000E49C: D10000FC 00AA532D
	v_cndmask_b32_e64 v254, v45, v42, s[78:79]                 // 00000000E4A4: D10000FE 013A552D
	v_cndmask_b32_e64 v253, v46, v43, s[42:43]                 // 00000000E4AC: D10000FD 00AA572E
	v_cndmask_b32_e64 v255, v46, v44, s[78:79]                 // 00000000E4B4: D10000FF 013A592E
	buffer_load_dword v73, v71, s[36:39], 0 offen              // 00000000E4BC: E0501000 80094947
	v_cvt_f32_i32_e32 v128, v128                               // 00000000E4C4: 7F000B80
	v_cvt_f32_i32_e32 v129, v129                               // 00000000E4C8: 7F020B81
	v_cvt_f32_i32_e32 v130, v130                               // 00000000E4CC: 7F040B82
	v_cvt_f32_i32_e32 v131, v131                               // 00000000E4D0: 7F060B83
	v_cvt_f32_i32_e32 v132, v132                               // 00000000E4D4: 7F080B84
	v_cvt_f32_i32_e32 v133, v133                               // 00000000E4D8: 7F0A0B85
	v_cvt_f32_i32_e32 v134, v134                               // 00000000E4DC: 7F0C0B86
	v_cvt_f32_i32_e32 v135, v135                               // 00000000E4E0: 7F0E0B87
	v_cvt_f32_i32_e32 v136, v136                               // 00000000E4E4: 7F100B88
	v_cvt_f32_i32_e32 v137, v137                               // 00000000E4E8: 7F120B89
	v_cvt_f32_i32_e32 v138, v138                               // 00000000E4EC: 7F140B8A
	v_cvt_f32_i32_e32 v139, v139                               // 00000000E4F0: 7F160B8B
	v_cvt_f32_i32_e32 v140, v140                               // 00000000E4F4: 7F180B8C
	v_cvt_f32_i32_e32 v141, v141                               // 00000000E4F8: 7F1A0B8D
	v_cvt_f32_i32_e32 v142, v142                               // 00000000E4FC: 7F1C0B8E
	v_cvt_f32_i32_e32 v143, v143                               // 00000000E500: 7F1E0B8F
	v_mul_f32_e32 v128, v54, v128                              // 00000000E504: 0B010136
	v_mul_f32_e32 v129, v54, v129                              // 00000000E508: 0B030336
	v_mul_f32_e32 v130, v54, v130                              // 00000000E50C: 0B050536
	v_mul_f32_e32 v131, v54, v131                              // 00000000E510: 0B070736
	v_mul_f32_e32 v132, v54, v132                              // 00000000E514: 0B090936
	v_mul_f32_e32 v133, v54, v133                              // 00000000E518: 0B0B0B36
	v_mul_f32_e32 v134, v54, v134                              // 00000000E51C: 0B0D0D36
	v_mul_f32_e32 v135, v54, v135                              // 00000000E520: 0B0F0F36
	v_mul_f32_e32 v136, v54, v136                              // 00000000E524: 0B111136
	v_mul_f32_e32 v137, v54, v137                              // 00000000E528: 0B131336
	v_mul_f32_e32 v138, v54, v138                              // 00000000E52C: 0B151536
	v_mul_f32_e32 v139, v54, v139                              // 00000000E530: 0B171736
	v_mul_f32_e32 v140, v54, v140                              // 00000000E534: 0B191936
	v_mul_f32_e32 v141, v54, v141                              // 00000000E538: 0B1B1B36
	v_mul_f32_e32 v142, v54, v142                              // 00000000E53C: 0B1D1D36
	v_mul_f32_e32 v143, v54, v143                              // 00000000E540: 0B1F1F36
	buffer_load_dwordx4 a[48:51], v31, s[16:19], 0 offen       // 00000000E544: E05C1000 8084301F
	v_mul_f32_dpp v128, v248, v128 quad_perm:[0,0,0,0] row_mask:0xf bank_mask:0xf// 00000000E54C: 0B0100FA FF0000F8
	v_mul_f32_dpp v129, v248, v129 quad_perm:[1,1,1,1] row_mask:0xf bank_mask:0xf// 00000000E554: 0B0302FA FF0055F8
	v_mul_f32_dpp v130, v248, v130 quad_perm:[2,2,2,2] row_mask:0xf bank_mask:0xf// 00000000E55C: 0B0504FA FF00AAF8
	v_mul_f32_dpp v131, v248, v131 quad_perm:[3,3,3,3] row_mask:0xf bank_mask:0xf// 00000000E564: 0B0706FA FF00FFF8
	v_mul_f32_dpp v132, v249, v132 quad_perm:[0,0,0,0] row_mask:0xf bank_mask:0xf// 00000000E56C: 0B0908FA FF0000F9
	v_mul_f32_dpp v133, v249, v133 quad_perm:[1,1,1,1] row_mask:0xf bank_mask:0xf// 00000000E574: 0B0B0AFA FF0055F9
	v_mul_f32_dpp v134, v249, v134 quad_perm:[2,2,2,2] row_mask:0xf bank_mask:0xf// 00000000E57C: 0B0D0CFA FF00AAF9
	v_mul_f32_dpp v135, v249, v135 quad_perm:[3,3,3,3] row_mask:0xf bank_mask:0xf// 00000000E584: 0B0F0EFA FF00FFF9
	v_mul_f32_dpp v136, v250, v136 quad_perm:[0,0,0,0] row_mask:0xf bank_mask:0xf// 00000000E58C: 0B1110FA FF0000FA
	v_mul_f32_dpp v137, v250, v137 quad_perm:[1,1,1,1] row_mask:0xf bank_mask:0xf// 00000000E594: 0B1312FA FF0055FA
	v_mul_f32_dpp v138, v250, v138 quad_perm:[2,2,2,2] row_mask:0xf bank_mask:0xf// 00000000E59C: 0B1514FA FF00AAFA
	v_mul_f32_dpp v139, v250, v139 quad_perm:[3,3,3,3] row_mask:0xf bank_mask:0xf// 00000000E5A4: 0B1716FA FF00FFFA
	v_mul_f32_dpp v140, v251, v140 quad_perm:[0,0,0,0] row_mask:0xf bank_mask:0xf// 00000000E5AC: 0B1918FA FF0000FB
	v_mul_f32_dpp v141, v251, v141 quad_perm:[1,1,1,1] row_mask:0xf bank_mask:0xf// 00000000E5B4: 0B1B1AFA FF0055FB
	v_mul_f32_dpp v142, v251, v142 quad_perm:[2,2,2,2] row_mask:0xf bank_mask:0xf// 00000000E5BC: 0B1D1CFA FF00AAFB
	v_mul_f32_dpp v143, v251, v143 quad_perm:[3,3,3,3] row_mask:0xf bank_mask:0xf// 00000000E5C4: 0B1F1EFA FF00FFFB
	buffer_load_dwordx4 a[52:55], v31, s[16:19], 0 offen offset:1024// 00000000E5CC: E05C1400 8084341F
	s_cmp_le_i32 s90, s89                                      // 00000000E5D4: BF05595A
	s_cbranch_scc1 label_316A                                  // 00000000E5D8: BF850073
	v_mov_b32_e32 v69, 0xff800000                              // 00000000E5DC: 7E8A02FF FF800000
	s_mov_b32 s60, s90                                         // 00000000E5E4: BEBC005A
	s_add_u32 s61, s89, 0xff                                   // 00000000E5E8: 803DFF59 000000FF
	v_mov_b32_e32 v41, s61                                     // 00000000E5F0: 7E52023D
	v_lshrrev_b32_e32 v240, 4, v0                              // 00000000E5F4: 21E00084
	v_mul_i32_i24_e32 v240, 4, v240                            // 00000000E5F8: 0DE1E084
	v_add_u32_e32 v240, s60, v240                              // 00000000E5FC: 69E1E03C
	v_and_b32_e32 v42, 15, v0                                  // 00000000E600: 2654008F
	v_lshrrev_b32_e32 v42, 3, v42                              // 00000000E604: 20545483
	s_mov_b32 s61, 0                                           // 00000000E608: BEBD0080
	s_mul_i32 s60, 16, s7                                      // 00000000E60C: 923C0790
	v_add_u32_e32 v42, s61, v42                                // 00000000E610: 6854543D
	v_sub_u32_e32 v240, v240, v42                              // 00000000E614: 6BE055F0
	v_add_u32_e32 v240, s60, v240                              // 00000000E618: 69E1E03C
	v_add_u32_e32 v241, 1, v240                                // 00000000E61C: 69E3E081
	v_add_u32_e32 v242, 2, v240                                // 00000000E620: 69E5E082
	v_add_u32_e32 v243, 3, v240                                // 00000000E624: 69E7E083
	v_cmp_le_u32_e64 s[40:41], v240, v41                       // 00000000E628: D0CB0028 000253F0
	v_add_u32_e32 v240, 64, v240                               // 00000000E630: 69E1E0C0
	s_nop 0                                                    // 00000000E634: BF800000
	v_cndmask_b32_e64 v128, v69, v128, s[40:41]                // 00000000E638: D1000080 00A30145
	v_cmp_le_u32_e64 s[40:41], v241, v41                       // 00000000E640: D0CB0028 000253F1
	v_add_u32_e32 v241, 64, v241                               // 00000000E648: 69E3E2C0
	s_nop 0                                                    // 00000000E64C: BF800000
	v_cndmask_b32_e64 v129, v69, v129, s[40:41]                // 00000000E650: D1000081 00A30345
	v_cmp_le_u32_e64 s[40:41], v242, v41                       // 00000000E658: D0CB0028 000253F2
	v_add_u32_e32 v242, 64, v242                               // 00000000E660: 69E5E4C0
	s_nop 0                                                    // 00000000E664: BF800000
	v_cndmask_b32_e64 v130, v69, v130, s[40:41]                // 00000000E668: D1000082 00A30545
	v_cmp_le_u32_e64 s[40:41], v243, v41                       // 00000000E670: D0CB0028 000253F3
	v_add_u32_e32 v243, 64, v243                               // 00000000E678: 69E7E6C0
	s_nop 0                                                    // 00000000E67C: BF800000
	v_cndmask_b32_e64 v131, v69, v131, s[40:41]                // 00000000E680: D1000083 00A30745
	v_cmp_le_u32_e64 s[40:41], v240, v41                       // 00000000E688: D0CB0028 000253F0
	v_add_u32_e32 v240, 64, v240                               // 00000000E690: 69E1E0C0
	s_nop 0                                                    // 00000000E694: BF800000
	v_cndmask_b32_e64 v132, v69, v132, s[40:41]                // 00000000E698: D1000084 00A30945
	v_cmp_le_u32_e64 s[40:41], v241, v41                       // 00000000E6A0: D0CB0028 000253F1
	v_add_u32_e32 v241, 64, v241                               // 00000000E6A8: 69E3E2C0
	s_nop 0                                                    // 00000000E6AC: BF800000
	v_cndmask_b32_e64 v133, v69, v133, s[40:41]                // 00000000E6B0: D1000085 00A30B45
	v_cmp_le_u32_e64 s[40:41], v242, v41                       // 00000000E6B8: D0CB0028 000253F2
	v_add_u32_e32 v242, 64, v242                               // 00000000E6C0: 69E5E4C0
	s_nop 0                                                    // 00000000E6C4: BF800000
	v_cndmask_b32_e64 v134, v69, v134, s[40:41]                // 00000000E6C8: D1000086 00A30D45
	v_cmp_le_u32_e64 s[40:41], v243, v41                       // 00000000E6D0: D0CB0028 000253F3
	v_add_u32_e32 v243, 64, v243                               // 00000000E6D8: 69E7E6C0
	s_nop 0                                                    // 00000000E6DC: BF800000
	v_cndmask_b32_e64 v135, v69, v135, s[40:41]                // 00000000E6E0: D1000087 00A30F45
	v_cmp_le_u32_e64 s[40:41], v240, v41                       // 00000000E6E8: D0CB0028 000253F0
	v_add_u32_e32 v240, 64, v240                               // 00000000E6F0: 69E1E0C0
	s_nop 0                                                    // 00000000E6F4: BF800000
	v_cndmask_b32_e64 v136, v69, v136, s[40:41]                // 00000000E6F8: D1000088 00A31145
	v_cmp_le_u32_e64 s[40:41], v241, v41                       // 00000000E700: D0CB0028 000253F1
	v_add_u32_e32 v241, 64, v241                               // 00000000E708: 69E3E2C0
	s_nop 0                                                    // 00000000E70C: BF800000
	v_cndmask_b32_e64 v137, v69, v137, s[40:41]                // 00000000E710: D1000089 00A31345
	v_cmp_le_u32_e64 s[40:41], v242, v41                       // 00000000E718: D0CB0028 000253F2
	v_add_u32_e32 v242, 64, v242                               // 00000000E720: 69E5E4C0
	s_nop 0                                                    // 00000000E724: BF800000
	v_cndmask_b32_e64 v138, v69, v138, s[40:41]                // 00000000E728: D100008A 00A31545
	v_cmp_le_u32_e64 s[40:41], v243, v41                       // 00000000E730: D0CB0028 000253F3
	v_add_u32_e32 v243, 64, v243                               // 00000000E738: 69E7E6C0
	s_nop 0                                                    // 00000000E73C: BF800000
	v_cndmask_b32_e64 v139, v69, v139, s[40:41]                // 00000000E740: D100008B 00A31745
	v_cmp_le_u32_e64 s[40:41], v240, v41                       // 00000000E748: D0CB0028 000253F0
	v_add_u32_e32 v240, 64, v240                               // 00000000E750: 69E1E0C0
	s_nop 0                                                    // 00000000E754: BF800000
	v_cndmask_b32_e64 v140, v69, v140, s[40:41]                // 00000000E758: D100008C 00A31945
	v_cmp_le_u32_e64 s[40:41], v241, v41                       // 00000000E760: D0CB0028 000253F1
	v_add_u32_e32 v241, 64, v241                               // 00000000E768: 69E3E2C0
	s_nop 0                                                    // 00000000E76C: BF800000
	v_cndmask_b32_e64 v141, v69, v141, s[40:41]                // 00000000E770: D100008D 00A31B45
	v_cmp_le_u32_e64 s[40:41], v242, v41                       // 00000000E778: D0CB0028 000253F2
	v_add_u32_e32 v242, 64, v242                               // 00000000E780: 69E5E4C0
	s_nop 0                                                    // 00000000E784: BF800000
	v_cndmask_b32_e64 v142, v69, v142, s[40:41]                // 00000000E788: D100008E 00A31D45
	v_cmp_le_u32_e64 s[40:41], v243, v41                       // 00000000E790: D0CB0028 000253F3
	v_add_u32_e32 v243, 64, v243                               // 00000000E798: 69E7E6C0
	s_nop 0                                                    // 00000000E79C: BF800000
	v_cndmask_b32_e64 v143, v69, v143, s[40:41]                // 00000000E7A0: D100008F 00A31F45

000000000000e7a8 <label_316A>:
	v_mov_b32_e32 v62, v128                                    // 00000000E7A8: 7E7C0380
	v_max3_f32 v62, v128, v129, v62                            // 00000000E7AC: D1D3003E 04FB0380
	v_max3_f32 v62, v130, v131, v62                            // 00000000E7B4: D1D3003E 04FB0782
	v_max3_f32 v62, v132, v133, v62                            // 00000000E7BC: D1D3003E 04FB0B84
	v_max3_f32 v62, v134, v135, v62                            // 00000000E7C4: D1D3003E 04FB0F86
	v_max3_f32 v62, v136, v137, v62                            // 00000000E7CC: D1D3003E 04FB1388
	v_max3_f32 v62, v138, v139, v62                            // 00000000E7D4: D1D3003E 04FB178A
	v_max3_f32 v62, v140, v141, v62                            // 00000000E7DC: D1D3003E 04FB1B8C
	v_max3_f32 v62, v142, v143, v62                            // 00000000E7E4: D1D3003E 04FB1F8E
	ds_write_b32 v11, v62 offset:16896                         // 00000000E7EC: D81A4200 00003E0B
	buffer_load_dwordx4 a[56:59], v32, s[16:19], 0 offen       // 00000000E7F4: E05C1000 80843820
	v_mul_u32_u24_dpp v41, v20, v68 row_newbcast:1 row_mask:0xf bank_mask:0xf// 00000000E7FC: 105288FA FF015114
	v_mul_u32_u24_dpp v42, v20, v68 row_newbcast:5 row_mask:0xf bank_mask:0xf// 00000000E804: 105488FA FF015514
	v_mul_u32_u24_dpp v43, v20, v68 row_newbcast:9 row_mask:0xf bank_mask:0xf// 00000000E80C: 105688FA FF015914
	v_mul_u32_u24_dpp v44, v20, v68 row_newbcast:13 row_mask:0xf bank_mask:0xf// 00000000E814: 105888FA FF015D14
	v_add_u32_e32 v37, v41, v7                                 // 00000000E81C: 684A0F29
	v_add_u32_e32 v38, v42, v7                                 // 00000000E820: 684C0F2A
	v_add_u32_e32 v39, v43, v7                                 // 00000000E824: 684E0F2B
	v_add_u32_e32 v40, v44, v7                                 // 00000000E828: 68500F2C
	v_mul_f32_e32 v224, v63, v224                              // 00000000E82C: 0BC1C13F
	v_mul_f32_e32 v225, v63, v225                              // 00000000E830: 0BC3C33F
	v_mul_f32_e32 v226, v63, v226                              // 00000000E834: 0BC5C53F
	v_mul_f32_e32 v227, v63, v227                              // 00000000E838: 0BC7C73F
	v_mul_f32_e32 v228, v63, v228                              // 00000000E83C: 0BC9C93F
	v_mul_f32_e32 v229, v63, v229                              // 00000000E840: 0BCBCB3F
	v_mul_f32_e32 v230, v63, v230                              // 00000000E844: 0BCDCD3F
	v_mul_f32_e32 v231, v63, v231                              // 00000000E848: 0BCFCF3F
	s_waitcnt lgkmcnt(0)                                       // 00000000E84C: BF8CC07F
	s_barrier                                                  // 00000000E850: BF8A0000
	ds_read_b32 v80, v10 offset:16896                          // 00000000E854: D86C4200 5000000A
	ds_read_b32 v81, v10 offset:16960                          // 00000000E85C: D86C4240 5100000A
	ds_read_b32 v82, v10 offset:17024                          // 00000000E864: D86C4280 5200000A
	ds_read_b32 v83, v10 offset:17088                          // 00000000E86C: D86C42C0 5300000A
	ds_read_b32 v84, v10 offset:17152                          // 00000000E874: D86C4300 5400000A
	ds_read_b32 v85, v10 offset:17216                          // 00000000E87C: D86C4340 5500000A
	ds_read_b32 v86, v10 offset:17280                          // 00000000E884: D86C4380 5600000A
	ds_read_b32 v87, v10 offset:17344                          // 00000000E88C: D86C43C0 5700000A
	ds_read_b32 v88, v10 offset:17408                          // 00000000E894: D86C4400 5800000A
	ds_read_b32 v89, v10 offset:17472                          // 00000000E89C: D86C4440 5900000A
	ds_read_b32 v90, v10 offset:17536                          // 00000000E8A4: D86C4480 5A00000A
	ds_read_b32 v91, v10 offset:17600                          // 00000000E8AC: D86C44C0 5B00000A
	ds_read_b32 v92, v10 offset:17664                          // 00000000E8B4: D86C4500 5C00000A
	ds_read_b32 v93, v10 offset:17728                          // 00000000E8BC: D86C4540 5D00000A
	ds_read_b32 v94, v10 offset:17792                          // 00000000E8C4: D86C4580 5E00000A
	ds_read_b32 v95, v10 offset:17856                          // 00000000E8CC: D86C45C0 5F00000A
	buffer_load_dwordx4 a[60:63], v32, s[16:19], 0 offen offset:1024// 00000000E8D4: E05C1400 80843C20
	v_cvt_f32_i32_e32 v192, v192                               // 00000000E8DC: 7F800BC0
	v_cvt_f32_i32_e32 v193, v193                               // 00000000E8E0: 7F820BC1
	v_cvt_f32_i32_e32 v194, v194                               // 00000000E8E4: 7F840BC2
	v_cvt_f32_i32_e32 v195, v195                               // 00000000E8E8: 7F860BC3
	v_cvt_f32_i32_e32 v196, v196                               // 00000000E8EC: 7F880BC4
	v_cvt_f32_i32_e32 v197, v197                               // 00000000E8F0: 7F8A0BC5
	v_cvt_f32_i32_e32 v198, v198                               // 00000000E8F4: 7F8C0BC6
	v_cvt_f32_i32_e32 v199, v199                               // 00000000E8F8: 7F8E0BC7
	v_mul_f32_e32 v192, v58, v192                              // 00000000E8FC: 0B81813A
	v_mul_f32_e32 v193, v58, v193                              // 00000000E900: 0B83833A
	v_mul_f32_e32 v194, v58, v194                              // 00000000E904: 0B85853A
	v_mul_f32_e32 v195, v58, v195                              // 00000000E908: 0B87873A
	v_mul_f32_e32 v196, v58, v196                              // 00000000E90C: 0B89893A
	v_mul_f32_e32 v197, v58, v197                              // 00000000E910: 0B8B8B3A
	v_mul_f32_e32 v198, v58, v198                              // 00000000E914: 0B8D8D3A
	v_mul_f32_e32 v199, v58, v199                              // 00000000E918: 0B8F8F3A
	s_waitcnt lgkmcnt(0)                                       // 00000000E91C: BF8CC07F
	v_max3_f32 v62, v80, v81, v62                              // 00000000E920: D1D3003E 04FAA350
	v_max3_f32 v62, v82, v83, v62                              // 00000000E928: D1D3003E 04FAA752
	v_max3_f32 v62, v84, v85, v62                              // 00000000E930: D1D3003E 04FAAB54
	v_max3_f32 v62, v86, v87, v62                              // 00000000E938: D1D3003E 04FAAF56
	v_max3_f32 v62, v88, v89, v62                              // 00000000E940: D1D3003E 04FAB358
	v_max3_f32 v62, v90, v91, v62                              // 00000000E948: D1D3003E 04FAB75A
	v_max3_f32 v62, v92, v93, v62                              // 00000000E950: D1D3003E 04FABB5C
	v_max3_f32 v62, v94, v95, v62                              // 00000000E958: D1D3003E 04FABF5E
	buffer_load_dwordx4 a[96:99], v37, s[20:23], 0 offen       // 00000000E960: E05C1000 80856025
	v_mov_b32_e32 v41, 0xff800000                              // 00000000E968: 7E5202FF FF800000
	v_cmp_eq_u32_e64 s[40:41], v41, v14                        // 00000000E970: D0CA0028 00021D29
	s_nop 1                                                    // 00000000E978: BF800001
	v_max_f32_e32 v18, v62, v14                                // 00000000E97C: 16241D3E
	v_mul_f32_e32 v67, s64, v18                                // 00000000E980: 0A862440
	v_fma_f32 v128, v128, s64, -v67                            // 00000000E984: D1CB0080 850C8180
	v_fma_f32 v129, v129, s64, -v67                            // 00000000E98C: D1CB0081 850C8181
	v_fma_f32 v130, v130, s64, -v67                            // 00000000E994: D1CB0082 850C8182
	v_fma_f32 v131, v131, s64, -v67                            // 00000000E99C: D1CB0083 850C8183
	v_fma_f32 v132, v132, s64, -v67                            // 00000000E9A4: D1CB0084 850C8184
	v_fma_f32 v133, v133, s64, -v67                            // 00000000E9AC: D1CB0085 850C8185
	v_fma_f32 v134, v134, s64, -v67                            // 00000000E9B4: D1CB0086 850C8186
	v_fma_f32 v135, v135, s64, -v67                            // 00000000E9BC: D1CB0087 850C8187
	v_fma_f32 v136, v136, s64, -v67                            // 00000000E9C4: D1CB0088 850C8188
	v_fma_f32 v137, v137, s64, -v67                            // 00000000E9CC: D1CB0089 850C8189
	v_fma_f32 v138, v138, s64, -v67                            // 00000000E9D4: D1CB008A 850C818A
	v_fma_f32 v139, v139, s64, -v67                            // 00000000E9DC: D1CB008B 850C818B
	v_fma_f32 v140, v140, s64, -v67                            // 00000000E9E4: D1CB008C 850C818C
	v_fma_f32 v141, v141, s64, -v67                            // 00000000E9EC: D1CB008D 850C818D
	v_fma_f32 v142, v142, s64, -v67                            // 00000000E9F4: D1CB008E 850C818E
	v_fma_f32 v143, v143, s64, -v67                            // 00000000E9FC: D1CB008F 850C818F
	buffer_load_dwordx4 a[100:103], v38, s[20:23], 0 offen     // 00000000EA04: E05C1000 80856426
	v_exp_f32_e32 v128, v128                                   // 00000000EA0C: 7F004180
	v_exp_f32_e32 v129, v129                                   // 00000000EA10: 7F024181
	v_exp_f32_e32 v130, v130                                   // 00000000EA14: 7F044182
	v_exp_f32_e32 v131, v131                                   // 00000000EA18: 7F064183
	v_exp_f32_e32 v132, v132                                   // 00000000EA1C: 7F084184
	v_exp_f32_e32 v133, v133                                   // 00000000EA20: 7F0A4185
	v_exp_f32_e32 v134, v134                                   // 00000000EA24: 7F0C4186
	v_exp_f32_e32 v135, v135                                   // 00000000EA28: 7F0E4187
	v_exp_f32_e32 v136, v136                                   // 00000000EA2C: 7F104188
	v_exp_f32_e32 v137, v137                                   // 00000000EA30: 7F124189
	v_exp_f32_e32 v138, v138                                   // 00000000EA34: 7F14418A
	v_exp_f32_e32 v139, v139                                   // 00000000EA38: 7F16418B
	v_exp_f32_e32 v140, v140                                   // 00000000EA3C: 7F18418C
	v_exp_f32_e32 v141, v141                                   // 00000000EA40: 7F1A418D
	v_exp_f32_e32 v142, v142                                   // 00000000EA44: 7F1C418E
	v_exp_f32_e32 v143, v143                                   // 00000000EA48: 7F1E418F
	buffer_load_dwordx4 a[104:107], v39, s[20:23], 0 offen     // 00000000EA4C: E05C1000 80856827
	v_mul_f32_dpp v240, v252, v128 quad_perm:[0,0,0,0] row_mask:0xf bank_mask:0xf// 00000000EA54: 0BE100FA FF0000FC
	v_mul_f32_dpp v241, v252, v129 quad_perm:[1,1,1,1] row_mask:0xf bank_mask:0xf// 00000000EA5C: 0BE302FA FF0055FC
	v_mul_f32_dpp v242, v252, v130 quad_perm:[2,2,2,2] row_mask:0xf bank_mask:0xf// 00000000EA64: 0BE504FA FF00AAFC
	v_mul_f32_dpp v243, v252, v131 quad_perm:[3,3,3,3] row_mask:0xf bank_mask:0xf// 00000000EA6C: 0BE706FA FF00FFFC
	v_mul_f32_dpp v244, v253, v132 quad_perm:[0,0,0,0] row_mask:0xf bank_mask:0xf// 00000000EA74: 0BE908FA FF0000FD
	v_mul_f32_dpp v245, v253, v133 quad_perm:[1,1,1,1] row_mask:0xf bank_mask:0xf// 00000000EA7C: 0BEB0AFA FF0055FD
	v_mul_f32_dpp v246, v253, v134 quad_perm:[2,2,2,2] row_mask:0xf bank_mask:0xf// 00000000EA84: 0BED0CFA FF00AAFD
	v_mul_f32_dpp v247, v253, v135 quad_perm:[3,3,3,3] row_mask:0xf bank_mask:0xf// 00000000EA8C: 0BEF0EFA FF00FFFD
	v_mul_f32_dpp v248, v254, v136 quad_perm:[0,0,0,0] row_mask:0xf bank_mask:0xf// 00000000EA94: 0BF110FA FF0000FE
	v_mul_f32_dpp v249, v254, v137 quad_perm:[1,1,1,1] row_mask:0xf bank_mask:0xf// 00000000EA9C: 0BF312FA FF0055FE
	v_mul_f32_dpp v250, v254, v138 quad_perm:[2,2,2,2] row_mask:0xf bank_mask:0xf// 00000000EAA4: 0BF514FA FF00AAFE
	v_mul_f32_dpp v251, v254, v139 quad_perm:[3,3,3,3] row_mask:0xf bank_mask:0xf// 00000000EAAC: 0BF716FA FF00FFFE
	v_mul_f32_dpp v252, v255, v140 quad_perm:[0,0,0,0] row_mask:0xf bank_mask:0xf// 00000000EAB4: 0BF918FA FF0000FF
	v_mul_f32_dpp v253, v255, v141 quad_perm:[1,1,1,1] row_mask:0xf bank_mask:0xf// 00000000EABC: 0BFB1AFA FF0055FF
	v_mul_f32_dpp v254, v255, v142 quad_perm:[2,2,2,2] row_mask:0xf bank_mask:0xf// 00000000EAC4: 0BFD1CFA FF00AAFF
	v_mul_f32_dpp v255, v255, v143 quad_perm:[3,3,3,3] row_mask:0xf bank_mask:0xf// 00000000EACC: 0BFF1EFA FF00FFFF
	v_mov_b32_e32 v62, 0x358637bd                              // 00000000EAD4: 7E7C02FF 358637BD
	v_max3_f32 v62, |v240|, |v241|, v62                        // 00000000EADC: D1D3033E 04FBE3F0
	v_max3_f32 v62, |v242|, |v243|, v62                        // 00000000EAE4: D1D3033E 04FBE7F2
	v_max3_f32 v62, |v244|, |v245|, v62                        // 00000000EAEC: D1D3033E 04FBEBF4
	v_max3_f32 v62, |v246|, |v247|, v62                        // 00000000EAF4: D1D3033E 04FBEFF6
	v_max3_f32 v62, |v248|, |v249|, v62                        // 00000000EAFC: D1D3033E 04FBF3F8
	v_max3_f32 v62, |v250|, |v251|, v62                        // 00000000EB04: D1D3033E 04FBF7FA
	v_max3_f32 v62, |v252|, |v253|, v62                        // 00000000EB0C: D1D3033E 04FBFBFC
	v_max3_f32 v62, |v254|, |v255|, v62                        // 00000000EB14: D1D3033E 04FBFFFE
	buffer_load_dwordx4 a[108:111], v40, s[20:23], 0 offen     // 00000000EB1C: E05C1000 80856C28
	ds_write_b32 v11, v62 offset:20992                         // 00000000EB24: D81A5200 00003E0B
	v_sub_f32_e32 v63, v14, v18                                // 00000000EB2C: 047E250E
	v_cndmask_b32_e64 v63, v63, 0, s[40:41]                    // 00000000EB30: D100003F 00A1013F
	v_mov_b32_e32 v14, v18                                     // 00000000EB38: 7E1C0312
	v_mul_f32_e32 v63, s64, v63                                // 00000000EB3C: 0A7E7E40
	v_exp_f32_e32 v63, v63                                     // 00000000EB40: 7E7E413F
	s_waitcnt lgkmcnt(0)                                       // 00000000EB44: BF8CC07F
	s_barrier                                                  // 00000000EB48: BF8A0000
	ds_read_b32 v80, v10 offset:20992                          // 00000000EB4C: D86C5200 5000000A
	ds_read_b32 v81, v10 offset:21056                          // 00000000EB54: D86C5240 5100000A
	ds_read_b32 v82, v10 offset:21120                          // 00000000EB5C: D86C5280 5200000A
	ds_read_b32 v83, v10 offset:21184                          // 00000000EB64: D86C52C0 5300000A
	ds_read_b32 v84, v10 offset:21248                          // 00000000EB6C: D86C5300 5400000A
	ds_read_b32 v85, v10 offset:21312                          // 00000000EB74: D86C5340 5500000A
	ds_read_b32 v86, v10 offset:21376                          // 00000000EB7C: D86C5380 5600000A
	ds_read_b32 v87, v10 offset:21440                          // 00000000EB84: D86C53C0 5700000A
	ds_read_b32 v88, v10 offset:21504                          // 00000000EB8C: D86C5400 5800000A
	ds_read_b32 v89, v10 offset:21568                          // 00000000EB94: D86C5440 5900000A
	ds_read_b32 v90, v10 offset:21632                          // 00000000EB9C: D86C5480 5A00000A
	ds_read_b32 v91, v10 offset:21696                          // 00000000EBA4: D86C54C0 5B00000A
	ds_read_b32 v92, v10 offset:21760                          // 00000000EBAC: D86C5500 5C00000A
	ds_read_b32 v93, v10 offset:21824                          // 00000000EBB4: D86C5540 5D00000A
	ds_read_b32 v94, v10 offset:21888                          // 00000000EBBC: D86C5580 5E00000A
	ds_read_b32 v95, v10 offset:21952                          // 00000000EBC4: D86C55C0 5F00000A
	v_mul_f32_e32 v47, v63, v47                                // 00000000EBCC: 0A5E5F3F
	v_mov_b32_e32 v18, v128                                    // 00000000EBD0: 7E240380
	v_add_f32_e32 v18, v129, v18                               // 00000000EBD4: 02242581
	v_add_f32_e32 v18, v130, v18                               // 00000000EBD8: 02242582
	v_add_f32_e32 v18, v131, v18                               // 00000000EBDC: 02242583
	v_add_f32_e32 v18, v132, v18                               // 00000000EBE0: 02242584
	v_add_f32_e32 v18, v133, v18                               // 00000000EBE4: 02242585
	v_add_f32_e32 v18, v134, v18                               // 00000000EBE8: 02242586
	v_add_f32_e32 v18, v135, v18                               // 00000000EBEC: 02242587
	v_add_f32_e32 v18, v136, v18                               // 00000000EBF0: 02242588
	v_add_f32_e32 v18, v137, v18                               // 00000000EBF4: 02242589
	v_add_f32_e32 v18, v138, v18                               // 00000000EBF8: 0224258A
	v_add_f32_e32 v18, v139, v18                               // 00000000EBFC: 0224258B
	v_add_f32_e32 v18, v140, v18                               // 00000000EC00: 0224258C
	v_add_f32_e32 v18, v141, v18                               // 00000000EC04: 0224258D
	v_add_f32_e32 v18, v142, v18                               // 00000000EC08: 0224258E
	v_add_f32_e32 v18, v143, v18                               // 00000000EC0C: 0224258F
	v_add_f32_e32 v47, v18, v47                                // 00000000EC10: 025E5F12
	s_waitcnt lgkmcnt(0)                                       // 00000000EC14: BF8CC07F
	v_max3_f32 v62, |v80|, |v81|, v62                          // 00000000EC18: D1D3033E 04FAA350
	v_max3_f32 v62, |v82|, |v83|, v62                          // 00000000EC20: D1D3033E 04FAA752
	v_max3_f32 v62, |v84|, |v85|, v62                          // 00000000EC28: D1D3033E 04FAAB54
	v_max3_f32 v62, |v86|, |v87|, v62                          // 00000000EC30: D1D3033E 04FAAF56
	v_max3_f32 v62, |v88|, |v89|, v62                          // 00000000EC38: D1D3033E 04FAB358
	v_max3_f32 v62, |v90|, |v91|, v62                          // 00000000EC40: D1D3033E 04FAB75A
	v_max3_f32 v62, |v92|, |v93|, v62                          // 00000000EC48: D1D3033E 04FABB5C
	v_max3_f32 v62, |v94|, |v95|, v62                          // 00000000EC50: D1D3033E 04FABF5E
	s_nop 2                                                    // 00000000EC58: BF800002
	v_rcp_f32_e32 v62, v62                                     // 00000000EC5C: 7E7C453E
	s_nop 1                                                    // 00000000EC60: BF800001
	v_mul_f32_e32 v62, 0x42fe0000, v62                         // 00000000EC64: 0A7C7CFF 42FE0000
	v_mul_f32_e32 v128, v62, v240                              // 00000000EC6C: 0B01E13E
	v_mul_f32_e32 v129, v62, v241                              // 00000000EC70: 0B03E33E
	v_mul_f32_e32 v130, v62, v242                              // 00000000EC74: 0B05E53E
	v_mul_f32_e32 v131, v62, v243                              // 00000000EC78: 0B07E73E
	v_mul_f32_e32 v132, v62, v244                              // 00000000EC7C: 0B09E93E
	v_mul_f32_e32 v133, v62, v245                              // 00000000EC80: 0B0BEB3E
	v_mul_f32_e32 v134, v62, v246                              // 00000000EC84: 0B0DED3E
	v_mul_f32_e32 v135, v62, v247                              // 00000000EC88: 0B0FEF3E
	v_mul_f32_e32 v136, v62, v248                              // 00000000EC8C: 0B11F13E
	v_mul_f32_e32 v137, v62, v249                              // 00000000EC90: 0B13F33E
	v_mul_f32_e32 v138, v62, v250                              // 00000000EC94: 0B15F53E
	v_mul_f32_e32 v139, v62, v251                              // 00000000EC98: 0B17F73E
	v_mul_f32_e32 v140, v62, v252                              // 00000000EC9C: 0B19F93E
	v_mul_f32_e32 v141, v62, v253                              // 00000000ECA0: 0B1BFB3E
	v_mul_f32_e32 v142, v62, v254                              // 00000000ECA4: 0B1DFD3E
	v_mul_f32_e32 v143, v62, v255                              // 00000000ECA8: 0B1FFF3E
	v_cvt_i32_f32_e32 v128, v128                               // 00000000ECAC: 7F001180
	v_cvt_i32_f32_e32 v129, v129                               // 00000000ECB0: 7F021181
	v_cvt_i32_f32_e32 v130, v130                               // 00000000ECB4: 7F041182
	v_cvt_i32_f32_e32 v131, v131                               // 00000000ECB8: 7F061183
	v_cvt_i32_f32_e32 v132, v132                               // 00000000ECBC: 7F081184
	v_cvt_i32_f32_e32 v133, v133                               // 00000000ECC0: 7F0A1185
	v_cvt_i32_f32_e32 v134, v134                               // 00000000ECC4: 7F0C1186
	v_cvt_i32_f32_e32 v135, v135                               // 00000000ECC8: 7F0E1187
	v_cvt_i32_f32_e32 v136, v136                               // 00000000ECCC: 7F101188
	v_cvt_i32_f32_e32 v137, v137                               // 00000000ECD0: 7F121189
	v_cvt_i32_f32_e32 v138, v138                               // 00000000ECD4: 7F14118A
	v_cvt_i32_f32_e32 v139, v139                               // 00000000ECD8: 7F16118B
	v_cvt_i32_f32_e32 v140, v140                               // 00000000ECDC: 7F18118C
	v_cvt_i32_f32_e32 v141, v141                               // 00000000ECE0: 7F1A118D
	v_cvt_i32_f32_e32 v142, v142                               // 00000000ECE4: 7F1C118E
	v_cvt_i32_f32_e32 v143, v143                               // 00000000ECE8: 7F1E118F
	v_perm_b32 v128, v129, v128, s53                           // 00000000ECEC: D1ED0080 00D70181
	v_perm_b32 v128, v130, v128, s54                           // 00000000ECF4: D1ED0080 00DB0182
	v_perm_b32 v128, v131, v128, s55                           // 00000000ECFC: D1ED0080 00DF0183
	v_perm_b32 v129, v133, v132, s53                           // 00000000ED04: D1ED0081 00D70985
	v_perm_b32 v129, v134, v129, s54                           // 00000000ED0C: D1ED0081 00DB0386
	v_perm_b32 v129, v135, v129, s55                           // 00000000ED14: D1ED0081 00DF0387
	v_perm_b32 v130, v137, v136, s53                           // 00000000ED1C: D1ED0082 00D71189
	v_perm_b32 v130, v138, v130, s54                           // 00000000ED24: D1ED0082 00DB058A
	v_perm_b32 v130, v139, v130, s55                           // 00000000ED2C: D1ED0082 00DF058B
	v_perm_b32 v131, v141, v140, s53                           // 00000000ED34: D1ED0083 00D7198D
	v_perm_b32 v131, v142, v131, s54                           // 00000000ED3C: D1ED0083 00DB078E
	v_perm_b32 v131, v143, v131, s55                           // 00000000ED44: D1ED0083 00DF078F
	ds_write_b32 v13, v128 offset:25088                        // 00000000ED4C: D81A6200 0000800D
	ds_write_b32 v13, v129 offset:26112                        // 00000000ED54: D81A6600 0000810D
	ds_write_b32 v13, v130 offset:27136                        // 00000000ED5C: D81A6A00 0000820D
	ds_write_b32 v13, v131 offset:28160                        // 00000000ED64: D81A6E00 0000830D
	v_add_f32_e32 v224, v224, v192                             // 00000000ED6C: 03C181E0
	v_add_f32_e32 v225, v225, v193                             // 00000000ED70: 03C383E1
	v_add_f32_e32 v226, v226, v194                             // 00000000ED74: 03C585E2
	v_add_f32_e32 v227, v227, v195                             // 00000000ED78: 03C787E3
	v_add_f32_e32 v228, v228, v196                             // 00000000ED7C: 03C989E4
	v_add_f32_e32 v229, v229, v197                             // 00000000ED80: 03CB8BE5
	v_add_f32_e32 v230, v230, v198                             // 00000000ED84: 03CD8DE6
	v_add_f32_e32 v231, v231, v199                             // 00000000ED88: 03CF8FE7
	v_rcp_f32_e32 v58, v62                                     // 00000000ED8C: 7E74453E
	s_waitcnt lgkmcnt(0)                                       // 00000000ED90: BF8CC07F
	s_barrier                                                  // 00000000ED94: BF8A0000
	ds_read_b64 v[128:129], v12 offset:25088                   // 00000000ED98: D8EC6200 8000000C
	ds_read_b64 v[130:131], v12 offset:25216                   // 00000000EDA0: D8EC6280 8200000C
	ds_read_b64 v[132:133], v12 offset:26112                   // 00000000EDA8: D8EC6600 8400000C
	ds_read_b64 v[134:135], v12 offset:26240                   // 00000000EDB0: D8EC6680 8600000C
	ds_read_b64 v[136:137], v12 offset:27136                   // 00000000EDB8: D8EC6A00 8800000C
	ds_read_b64 v[138:139], v12 offset:27264                   // 00000000EDC0: D8EC6A80 8A00000C
	ds_read_b64 v[140:141], v12 offset:28160                   // 00000000EDC8: D8EC6E00 8C00000C
	ds_read_b64 v[142:143], v12 offset:28288                   // 00000000EDD0: D8EC6E80 8E00000C
	v_mov_b32_dpp v41, v52 row_shr:4 row_mask:0xf bank_mask:0xf// 00000000EDD8: 7E5202FA FF011434
	v_mov_b32_dpp v42, v52 row_shl:4 row_mask:0xf bank_mask:0xf// 00000000EDE0: 7E5402FA FF010434
	v_cndmask_b32_e64 v248, v52, v41, s[44:45]                 // 00000000EDE8: D10000F8 00B25334
	v_cndmask_b32_e64 v249, v42, v52, s[44:45]                 // 00000000EDF0: D10000F9 00B2692A
	v_mov_b32_dpp v41, v248 row_shr:8 row_mask:0xf bank_mask:0xf// 00000000EDF8: 7E5202FA FF0118F8
	v_mov_b32_dpp v42, v248 row_shl:8 row_mask:0xf bank_mask:0xf// 00000000EE00: 7E5402FA FF0108F8
	v_mov_b32_dpp v43, v249 row_shr:8 row_mask:0xf bank_mask:0xf// 00000000EE08: 7E5602FA FF0118F9
	v_mov_b32_dpp v44, v249 row_shl:8 row_mask:0xf bank_mask:0xf// 00000000EE10: 7E5802FA FF0108F9
	v_mov_b32_e32 v45, v248                                    // 00000000EE18: 7E5A03F8
	v_mov_b32_e32 v46, v249                                    // 00000000EE1C: 7E5C03F9
	v_cndmask_b32_e64 v248, v45, v41, s[42:43]                 // 00000000EE20: D10000F8 00AA532D
	v_cndmask_b32_e64 v250, v45, v42, s[78:79]                 // 00000000EE28: D10000FA 013A552D
	v_cndmask_b32_e64 v249, v46, v43, s[42:43]                 // 00000000EE30: D10000F9 00AA572E
	v_cndmask_b32_e64 v251, v46, v44, s[78:79]                 // 00000000EE38: D10000FB 013A592E
	v_mov_b32_dpp v41, v72 row_shr:4 row_mask:0xf bank_mask:0xf// 00000000EE40: 7E5202FA FF011448
	v_mov_b32_dpp v42, v72 row_shl:4 row_mask:0xf bank_mask:0xf// 00000000EE48: 7E5402FA FF010448
	v_cndmask_b32_e64 v252, v72, v41, s[44:45]                 // 00000000EE50: D10000FC 00B25348
	v_cndmask_b32_e64 v253, v42, v72, s[44:45]                 // 00000000EE58: D10000FD 00B2912A
	v_mov_b32_dpp v41, v252 row_shr:8 row_mask:0xf bank_mask:0xf// 00000000EE60: 7E5202FA FF0118FC
	v_mov_b32_dpp v42, v252 row_shl:8 row_mask:0xf bank_mask:0xf// 00000000EE68: 7E5402FA FF0108FC
	v_mov_b32_dpp v43, v253 row_shr:8 row_mask:0xf bank_mask:0xf// 00000000EE70: 7E5602FA FF0118FD
	v_mov_b32_dpp v44, v253 row_shl:8 row_mask:0xf bank_mask:0xf// 00000000EE78: 7E5802FA FF0108FD
	v_mov_b32_e32 v45, v252                                    // 00000000EE80: 7E5A03FC
	v_mov_b32_e32 v46, v253                                    // 00000000EE84: 7E5C03FD
	v_cndmask_b32_e64 v252, v45, v41, s[42:43]                 // 00000000EE88: D10000FC 00AA532D
	v_cndmask_b32_e64 v254, v45, v42, s[78:79]                 // 00000000EE90: D10000FE 013A552D
	v_cndmask_b32_e64 v253, v46, v43, s[42:43]                 // 00000000EE98: D10000FD 00AA572E
	v_cndmask_b32_e64 v255, v46, v44, s[78:79]                 // 00000000EEA0: D10000FF 013A592E
	v_cvt_f32_i32_e32 v144, v144                               // 00000000EEA8: 7F200B90
	v_cvt_f32_i32_e32 v145, v145                               // 00000000EEAC: 7F220B91
	v_cvt_f32_i32_e32 v146, v146                               // 00000000EEB0: 7F240B92
	v_cvt_f32_i32_e32 v147, v147                               // 00000000EEB4: 7F260B93
	v_cvt_f32_i32_e32 v148, v148                               // 00000000EEB8: 7F280B94
	v_cvt_f32_i32_e32 v149, v149                               // 00000000EEBC: 7F2A0B95
	v_cvt_f32_i32_e32 v150, v150                               // 00000000EEC0: 7F2C0B96
	v_cvt_f32_i32_e32 v151, v151                               // 00000000EEC4: 7F2E0B97
	v_cvt_f32_i32_e32 v152, v152                               // 00000000EEC8: 7F300B98
	v_cvt_f32_i32_e32 v153, v153                               // 00000000EECC: 7F320B99
	v_cvt_f32_i32_e32 v154, v154                               // 00000000EED0: 7F340B9A
	v_cvt_f32_i32_e32 v155, v155                               // 00000000EED4: 7F360B9B
	v_cvt_f32_i32_e32 v156, v156                               // 00000000EED8: 7F380B9C
	v_cvt_f32_i32_e32 v157, v157                               // 00000000EEDC: 7F3A0B9D
	v_cvt_f32_i32_e32 v158, v158                               // 00000000EEE0: 7F3C0B9E
	v_cvt_f32_i32_e32 v159, v159                               // 00000000EEE4: 7F3E0B9F
	v_mul_f32_e32 v144, v55, v144                              // 00000000EEE8: 0B212137
	v_mul_f32_e32 v145, v55, v145                              // 00000000EEEC: 0B232337
	v_mul_f32_e32 v146, v55, v146                              // 00000000EEF0: 0B252537
	v_mul_f32_e32 v147, v55, v147                              // 00000000EEF4: 0B272737
	v_mul_f32_e32 v148, v55, v148                              // 00000000EEF8: 0B292937
	v_mul_f32_e32 v149, v55, v149                              // 00000000EEFC: 0B2B2B37
	v_mul_f32_e32 v150, v55, v150                              // 00000000EF00: 0B2D2D37
	v_mul_f32_e32 v151, v55, v151                              // 00000000EF04: 0B2F2F37
	v_mul_f32_e32 v152, v55, v152                              // 00000000EF08: 0B313137
	v_mul_f32_e32 v153, v55, v153                              // 00000000EF0C: 0B333337
	v_mul_f32_e32 v154, v55, v154                              // 00000000EF10: 0B353537
	v_mul_f32_e32 v155, v55, v155                              // 00000000EF14: 0B373737
	v_mul_f32_e32 v156, v55, v156                              // 00000000EF18: 0B393937
	v_mul_f32_e32 v157, v55, v157                              // 00000000EF1C: 0B3B3B37
	v_mul_f32_e32 v158, v55, v158                              // 00000000EF20: 0B3D3D37
	v_mul_f32_e32 v159, v55, v159                              // 00000000EF24: 0B3F3F37
	v_mul_f32_dpp v144, v248, v144 quad_perm:[0,0,0,0] row_mask:0xf bank_mask:0xf// 00000000EF28: 0B2120FA FF0000F8
	v_mul_f32_dpp v145, v248, v145 quad_perm:[1,1,1,1] row_mask:0xf bank_mask:0xf// 00000000EF30: 0B2322FA FF0055F8
	v_mul_f32_dpp v146, v248, v146 quad_perm:[2,2,2,2] row_mask:0xf bank_mask:0xf// 00000000EF38: 0B2524FA FF00AAF8
	v_mul_f32_dpp v147, v248, v147 quad_perm:[3,3,3,3] row_mask:0xf bank_mask:0xf// 00000000EF40: 0B2726FA FF00FFF8
	v_mul_f32_dpp v148, v249, v148 quad_perm:[0,0,0,0] row_mask:0xf bank_mask:0xf// 00000000EF48: 0B2928FA FF0000F9
	v_mul_f32_dpp v149, v249, v149 quad_perm:[1,1,1,1] row_mask:0xf bank_mask:0xf// 00000000EF50: 0B2B2AFA FF0055F9
	v_mul_f32_dpp v150, v249, v150 quad_perm:[2,2,2,2] row_mask:0xf bank_mask:0xf// 00000000EF58: 0B2D2CFA FF00AAF9
	v_mul_f32_dpp v151, v249, v151 quad_perm:[3,3,3,3] row_mask:0xf bank_mask:0xf// 00000000EF60: 0B2F2EFA FF00FFF9
	v_mul_f32_dpp v152, v250, v152 quad_perm:[0,0,0,0] row_mask:0xf bank_mask:0xf// 00000000EF68: 0B3130FA FF0000FA
	v_mul_f32_dpp v153, v250, v153 quad_perm:[1,1,1,1] row_mask:0xf bank_mask:0xf// 00000000EF70: 0B3332FA FF0055FA
	v_mul_f32_dpp v154, v250, v154 quad_perm:[2,2,2,2] row_mask:0xf bank_mask:0xf// 00000000EF78: 0B3534FA FF00AAFA
	v_mul_f32_dpp v155, v250, v155 quad_perm:[3,3,3,3] row_mask:0xf bank_mask:0xf// 00000000EF80: 0B3736FA FF00FFFA
	v_mul_f32_dpp v156, v251, v156 quad_perm:[0,0,0,0] row_mask:0xf bank_mask:0xf// 00000000EF88: 0B3938FA FF0000FB
	v_mul_f32_dpp v157, v251, v157 quad_perm:[1,1,1,1] row_mask:0xf bank_mask:0xf// 00000000EF90: 0B3B3AFA FF0055FB
	v_mul_f32_dpp v158, v251, v158 quad_perm:[2,2,2,2] row_mask:0xf bank_mask:0xf// 00000000EF98: 0B3D3CFA FF00AAFB
	v_mul_f32_dpp v159, v251, v159 quad_perm:[3,3,3,3] row_mask:0xf bank_mask:0xf// 00000000EFA0: 0B3F3EFA FF00FFFB
	s_cmp_le_i32 s90, s89                                      // 00000000EFA8: BF05595A
	s_cbranch_scc1 label_33DF                                  // 00000000EFAC: BF850073
	v_mov_b32_e32 v69, 0xff800000                              // 00000000EFB0: 7E8A02FF FF800000
	s_mov_b32 s60, s90                                         // 00000000EFB8: BEBC005A
	s_add_u32 s61, s89, 0xff                                   // 00000000EFBC: 803DFF59 000000FF
	v_mov_b32_e32 v41, s61                                     // 00000000EFC4: 7E52023D
	v_lshrrev_b32_e32 v240, 4, v0                              // 00000000EFC8: 21E00084
	v_mul_i32_i24_e32 v240, 4, v240                            // 00000000EFCC: 0DE1E084
	v_add_u32_e32 v240, s60, v240                              // 00000000EFD0: 69E1E03C
	v_and_b32_e32 v42, 15, v0                                  // 00000000EFD4: 2654008F
	v_lshrrev_b32_e32 v42, 3, v42                              // 00000000EFD8: 20545483
	s_mov_b32 s61, 2                                           // 00000000EFDC: BEBD0082
	s_mul_i32 s60, 16, s7                                      // 00000000EFE0: 923C0790
	v_add_u32_e32 v42, s61, v42                                // 00000000EFE4: 6854543D
	v_sub_u32_e32 v240, v240, v42                              // 00000000EFE8: 6BE055F0
	v_add_u32_e32 v240, s60, v240                              // 00000000EFEC: 69E1E03C
	v_add_u32_e32 v241, 1, v240                                // 00000000EFF0: 69E3E081
	v_add_u32_e32 v242, 2, v240                                // 00000000EFF4: 69E5E082
	v_add_u32_e32 v243, 3, v240                                // 00000000EFF8: 69E7E083
	v_cmp_le_u32_e64 s[40:41], v240, v41                       // 00000000EFFC: D0CB0028 000253F0
	v_add_u32_e32 v240, 64, v240                               // 00000000F004: 69E1E0C0
	s_nop 0                                                    // 00000000F008: BF800000
	v_cndmask_b32_e64 v144, v69, v144, s[40:41]                // 00000000F00C: D1000090 00A32145
	v_cmp_le_u32_e64 s[40:41], v241, v41                       // 00000000F014: D0CB0028 000253F1
	v_add_u32_e32 v241, 64, v241                               // 00000000F01C: 69E3E2C0
	s_nop 0                                                    // 00000000F020: BF800000
	v_cndmask_b32_e64 v145, v69, v145, s[40:41]                // 00000000F024: D1000091 00A32345
	v_cmp_le_u32_e64 s[40:41], v242, v41                       // 00000000F02C: D0CB0028 000253F2
	v_add_u32_e32 v242, 64, v242                               // 00000000F034: 69E5E4C0
	s_nop 0                                                    // 00000000F038: BF800000
	v_cndmask_b32_e64 v146, v69, v146, s[40:41]                // 00000000F03C: D1000092 00A32545
	v_cmp_le_u32_e64 s[40:41], v243, v41                       // 00000000F044: D0CB0028 000253F3
	v_add_u32_e32 v243, 64, v243                               // 00000000F04C: 69E7E6C0
	s_nop 0                                                    // 00000000F050: BF800000
	v_cndmask_b32_e64 v147, v69, v147, s[40:41]                // 00000000F054: D1000093 00A32745
	v_cmp_le_u32_e64 s[40:41], v240, v41                       // 00000000F05C: D0CB0028 000253F0
	v_add_u32_e32 v240, 64, v240                               // 00000000F064: 69E1E0C0
	s_nop 0                                                    // 00000000F068: BF800000
	v_cndmask_b32_e64 v148, v69, v148, s[40:41]                // 00000000F06C: D1000094 00A32945
	v_cmp_le_u32_e64 s[40:41], v241, v41                       // 00000000F074: D0CB0028 000253F1
	v_add_u32_e32 v241, 64, v241                               // 00000000F07C: 69E3E2C0
	s_nop 0                                                    // 00000000F080: BF800000
	v_cndmask_b32_e64 v149, v69, v149, s[40:41]                // 00000000F084: D1000095 00A32B45
	v_cmp_le_u32_e64 s[40:41], v242, v41                       // 00000000F08C: D0CB0028 000253F2
	v_add_u32_e32 v242, 64, v242                               // 00000000F094: 69E5E4C0
	s_nop 0                                                    // 00000000F098: BF800000
	v_cndmask_b32_e64 v150, v69, v150, s[40:41]                // 00000000F09C: D1000096 00A32D45
	v_cmp_le_u32_e64 s[40:41], v243, v41                       // 00000000F0A4: D0CB0028 000253F3
	v_add_u32_e32 v243, 64, v243                               // 00000000F0AC: 69E7E6C0
	s_nop 0                                                    // 00000000F0B0: BF800000
	v_cndmask_b32_e64 v151, v69, v151, s[40:41]                // 00000000F0B4: D1000097 00A32F45
	v_cmp_le_u32_e64 s[40:41], v240, v41                       // 00000000F0BC: D0CB0028 000253F0
	v_add_u32_e32 v240, 64, v240                               // 00000000F0C4: 69E1E0C0
	s_nop 0                                                    // 00000000F0C8: BF800000
	v_cndmask_b32_e64 v152, v69, v152, s[40:41]                // 00000000F0CC: D1000098 00A33145
	v_cmp_le_u32_e64 s[40:41], v241, v41                       // 00000000F0D4: D0CB0028 000253F1
	v_add_u32_e32 v241, 64, v241                               // 00000000F0DC: 69E3E2C0
	s_nop 0                                                    // 00000000F0E0: BF800000
	v_cndmask_b32_e64 v153, v69, v153, s[40:41]                // 00000000F0E4: D1000099 00A33345
	v_cmp_le_u32_e64 s[40:41], v242, v41                       // 00000000F0EC: D0CB0028 000253F2
	v_add_u32_e32 v242, 64, v242                               // 00000000F0F4: 69E5E4C0
	s_nop 0                                                    // 00000000F0F8: BF800000
	v_cndmask_b32_e64 v154, v69, v154, s[40:41]                // 00000000F0FC: D100009A 00A33545
	v_cmp_le_u32_e64 s[40:41], v243, v41                       // 00000000F104: D0CB0028 000253F3
	v_add_u32_e32 v243, 64, v243                               // 00000000F10C: 69E7E6C0
	s_nop 0                                                    // 00000000F110: BF800000
	v_cndmask_b32_e64 v155, v69, v155, s[40:41]                // 00000000F114: D100009B 00A33745
	v_cmp_le_u32_e64 s[40:41], v240, v41                       // 00000000F11C: D0CB0028 000253F0
	v_add_u32_e32 v240, 64, v240                               // 00000000F124: 69E1E0C0
	s_nop 0                                                    // 00000000F128: BF800000
	v_cndmask_b32_e64 v156, v69, v156, s[40:41]                // 00000000F12C: D100009C 00A33945
	v_cmp_le_u32_e64 s[40:41], v241, v41                       // 00000000F134: D0CB0028 000253F1
	v_add_u32_e32 v241, 64, v241                               // 00000000F13C: 69E3E2C0
	s_nop 0                                                    // 00000000F140: BF800000
	v_cndmask_b32_e64 v157, v69, v157, s[40:41]                // 00000000F144: D100009D 00A33B45
	v_cmp_le_u32_e64 s[40:41], v242, v41                       // 00000000F14C: D0CB0028 000253F2
	v_add_u32_e32 v242, 64, v242                               // 00000000F154: 69E5E4C0
	s_nop 0                                                    // 00000000F158: BF800000
	v_cndmask_b32_e64 v158, v69, v158, s[40:41]                // 00000000F15C: D100009E 00A33D45
	v_cmp_le_u32_e64 s[40:41], v243, v41                       // 00000000F164: D0CB0028 000253F3
	v_add_u32_e32 v243, 64, v243                               // 00000000F16C: 69E7E6C0
	s_nop 0                                                    // 00000000F170: BF800000
	v_cndmask_b32_e64 v159, v69, v159, s[40:41]                // 00000000F174: D100009F 00A33F45

000000000000f17c <label_33DF>:
	s_add_u32 s90, s91, s90                                    // 00000000F17C: 805A5A5B
	v_mov_b32_e32 v62, v144                                    // 00000000F180: 7E7C0390
	v_max3_f32 v62, v144, v145, v62                            // 00000000F184: D1D3003E 04FB2390
	v_max3_f32 v62, v146, v147, v62                            // 00000000F18C: D1D3003E 04FB2792
	v_max3_f32 v62, v148, v149, v62                            // 00000000F194: D1D3003E 04FB2B94
	v_max3_f32 v62, v150, v151, v62                            // 00000000F19C: D1D3003E 04FB2F96
	v_max3_f32 v62, v152, v153, v62                            // 00000000F1A4: D1D3003E 04FB3398
	v_max3_f32 v62, v154, v155, v62                            // 00000000F1AC: D1D3003E 04FB379A
	v_max3_f32 v62, v156, v157, v62                            // 00000000F1B4: D1D3003E 04FB3B9C
	v_max3_f32 v62, v158, v159, v62                            // 00000000F1BC: D1D3003E 04FB3F9E
	ds_write_b32 v11, v62 offset:16896                         // 00000000F1C4: D81A4200 00003E0B
	v_mul_f32_e32 v232, v64, v232                              // 00000000F1CC: 0BD1D140
	v_mul_f32_e32 v233, v64, v233                              // 00000000F1D0: 0BD3D340
	v_mul_f32_e32 v234, v64, v234                              // 00000000F1D4: 0BD5D540
	v_mul_f32_e32 v235, v64, v235                              // 00000000F1D8: 0BD7D740
	v_mul_f32_e32 v236, v64, v236                              // 00000000F1DC: 0BD9D940
	v_mul_f32_e32 v237, v64, v237                              // 00000000F1E0: 0BDBDB40
	v_mul_f32_e32 v238, v64, v238                              // 00000000F1E4: 0BDDDD40
	v_mul_f32_e32 v239, v64, v239                              // 00000000F1E8: 0BDFDF40
	s_waitcnt lgkmcnt(0)                                       // 00000000F1EC: BF8CC07F
	s_barrier                                                  // 00000000F1F0: BF8A0000
	ds_read_b32 v80, v10 offset:16896                          // 00000000F1F4: D86C4200 5000000A
	ds_read_b32 v81, v10 offset:16960                          // 00000000F1FC: D86C4240 5100000A
	ds_read_b32 v82, v10 offset:17024                          // 00000000F204: D86C4280 5200000A
	ds_read_b32 v83, v10 offset:17088                          // 00000000F20C: D86C42C0 5300000A
	ds_read_b32 v84, v10 offset:17152                          // 00000000F214: D86C4300 5400000A
	ds_read_b32 v85, v10 offset:17216                          // 00000000F21C: D86C4340 5500000A
	ds_read_b32 v86, v10 offset:17280                          // 00000000F224: D86C4380 5600000A
	ds_read_b32 v87, v10 offset:17344                          // 00000000F22C: D86C43C0 5700000A
	ds_read_b32 v88, v10 offset:17408                          // 00000000F234: D86C4400 5800000A
	ds_read_b32 v89, v10 offset:17472                          // 00000000F23C: D86C4440 5900000A
	ds_read_b32 v90, v10 offset:17536                          // 00000000F244: D86C4480 5A00000A
	ds_read_b32 v91, v10 offset:17600                          // 00000000F24C: D86C44C0 5B00000A
	ds_read_b32 v92, v10 offset:17664                          // 00000000F254: D86C4500 5C00000A
	ds_read_b32 v93, v10 offset:17728                          // 00000000F25C: D86C4540 5D00000A
	ds_read_b32 v94, v10 offset:17792                          // 00000000F264: D86C4580 5E00000A
	ds_read_b32 v95, v10 offset:17856                          // 00000000F26C: D86C45C0 5F00000A
	v_cvt_f32_i32_e32 v200, v200                               // 00000000F274: 7F900BC8
	v_cvt_f32_i32_e32 v201, v201                               // 00000000F278: 7F920BC9
	v_cvt_f32_i32_e32 v202, v202                               // 00000000F27C: 7F940BCA
	v_cvt_f32_i32_e32 v203, v203                               // 00000000F280: 7F960BCB
	v_cvt_f32_i32_e32 v204, v204                               // 00000000F284: 7F980BCC
	v_cvt_f32_i32_e32 v205, v205                               // 00000000F288: 7F9A0BCD
	v_cvt_f32_i32_e32 v206, v206                               // 00000000F28C: 7F9C0BCE
	v_cvt_f32_i32_e32 v207, v207                               // 00000000F290: 7F9E0BCF
	v_mul_f32_e32 v200, v59, v200                              // 00000000F294: 0B91913B
	v_mul_f32_e32 v201, v59, v201                              // 00000000F298: 0B93933B
	v_mul_f32_e32 v202, v59, v202                              // 00000000F29C: 0B95953B
	v_mul_f32_e32 v203, v59, v203                              // 00000000F2A0: 0B97973B
	v_mul_f32_e32 v204, v59, v204                              // 00000000F2A4: 0B99993B
	v_mul_f32_e32 v205, v59, v205                              // 00000000F2A8: 0B9B9B3B
	v_mul_f32_e32 v206, v59, v206                              // 00000000F2AC: 0B9D9D3B
	v_mul_f32_e32 v207, v59, v207                              // 00000000F2B0: 0B9F9F3B
	s_waitcnt lgkmcnt(0)                                       // 00000000F2B4: BF8CC07F
	v_max3_f32 v62, v80, v81, v62                              // 00000000F2B8: D1D3003E 04FAA350
	v_max3_f32 v62, v82, v83, v62                              // 00000000F2C0: D1D3003E 04FAA752
	v_max3_f32 v62, v84, v85, v62                              // 00000000F2C8: D1D3003E 04FAAB54
	v_max3_f32 v62, v86, v87, v62                              // 00000000F2D0: D1D3003E 04FAAF56
	v_max3_f32 v62, v88, v89, v62                              // 00000000F2D8: D1D3003E 04FAB358
	v_max3_f32 v62, v90, v91, v62                              // 00000000F2E0: D1D3003E 04FAB75A
	v_max3_f32 v62, v92, v93, v62                              // 00000000F2E8: D1D3003E 04FABB5C
	v_max3_f32 v62, v94, v95, v62                              // 00000000F2F0: D1D3003E 04FABF5E
	v_mov_b32_e32 v41, 0xff800000                              // 00000000F2F8: 7E5202FF FF800000
	v_cmp_eq_u32_e64 s[40:41], v41, v15                        // 00000000F300: D0CA0028 00021F29
	s_nop 1                                                    // 00000000F308: BF800001
	v_max_f32_e32 v18, v62, v15                                // 00000000F30C: 16241F3E
	v_mul_f32_e32 v67, s64, v18                                // 00000000F310: 0A862440
	v_fma_f32 v144, v144, s64, -v67                            // 00000000F314: D1CB0090 850C8190
	v_fma_f32 v145, v145, s64, -v67                            // 00000000F31C: D1CB0091 850C8191
	v_fma_f32 v146, v146, s64, -v67                            // 00000000F324: D1CB0092 850C8192
	v_fma_f32 v147, v147, s64, -v67                            // 00000000F32C: D1CB0093 850C8193
	v_fma_f32 v148, v148, s64, -v67                            // 00000000F334: D1CB0094 850C8194
	v_fma_f32 v149, v149, s64, -v67                            // 00000000F33C: D1CB0095 850C8195
	v_fma_f32 v150, v150, s64, -v67                            // 00000000F344: D1CB0096 850C8196
	v_fma_f32 v151, v151, s64, -v67                            // 00000000F34C: D1CB0097 850C8197
	v_fma_f32 v152, v152, s64, -v67                            // 00000000F354: D1CB0098 850C8198
	v_fma_f32 v153, v153, s64, -v67                            // 00000000F35C: D1CB0099 850C8199
	v_fma_f32 v154, v154, s64, -v67                            // 00000000F364: D1CB009A 850C819A
	v_fma_f32 v155, v155, s64, -v67                            // 00000000F36C: D1CB009B 850C819B
	v_fma_f32 v156, v156, s64, -v67                            // 00000000F374: D1CB009C 850C819C
	v_fma_f32 v157, v157, s64, -v67                            // 00000000F37C: D1CB009D 850C819D
	v_fma_f32 v158, v158, s64, -v67                            // 00000000F384: D1CB009E 850C819E
	v_fma_f32 v159, v159, s64, -v67                            // 00000000F38C: D1CB009F 850C819F
	v_exp_f32_e32 v144, v144                                   // 00000000F394: 7F204190
	v_exp_f32_e32 v145, v145                                   // 00000000F398: 7F224191
	v_exp_f32_e32 v146, v146                                   // 00000000F39C: 7F244192
	v_exp_f32_e32 v147, v147                                   // 00000000F3A0: 7F264193
	v_exp_f32_e32 v148, v148                                   // 00000000F3A4: 7F284194
	v_exp_f32_e32 v149, v149                                   // 00000000F3A8: 7F2A4195
	v_exp_f32_e32 v150, v150                                   // 00000000F3AC: 7F2C4196
	v_exp_f32_e32 v151, v151                                   // 00000000F3B0: 7F2E4197
	v_exp_f32_e32 v152, v152                                   // 00000000F3B4: 7F304198
	v_exp_f32_e32 v153, v153                                   // 00000000F3B8: 7F324199
	v_exp_f32_e32 v154, v154                                   // 00000000F3BC: 7F34419A
	v_exp_f32_e32 v155, v155                                   // 00000000F3C0: 7F36419B
	v_exp_f32_e32 v156, v156                                   // 00000000F3C4: 7F38419C
	v_exp_f32_e32 v157, v157                                   // 00000000F3C8: 7F3A419D
	v_exp_f32_e32 v158, v158                                   // 00000000F3CC: 7F3C419E
	v_exp_f32_e32 v159, v159                                   // 00000000F3D0: 7F3E419F
	v_mul_f32_dpp v240, v252, v144 quad_perm:[0,0,0,0] row_mask:0xf bank_mask:0xf// 00000000F3D4: 0BE120FA FF0000FC
	v_mul_f32_dpp v241, v252, v145 quad_perm:[1,1,1,1] row_mask:0xf bank_mask:0xf// 00000000F3DC: 0BE322FA FF0055FC
	v_mul_f32_dpp v242, v252, v146 quad_perm:[2,2,2,2] row_mask:0xf bank_mask:0xf// 00000000F3E4: 0BE524FA FF00AAFC
	v_mul_f32_dpp v243, v252, v147 quad_perm:[3,3,3,3] row_mask:0xf bank_mask:0xf// 00000000F3EC: 0BE726FA FF00FFFC
	v_mul_f32_dpp v244, v253, v148 quad_perm:[0,0,0,0] row_mask:0xf bank_mask:0xf// 00000000F3F4: 0BE928FA FF0000FD
	v_mul_f32_dpp v245, v253, v149 quad_perm:[1,1,1,1] row_mask:0xf bank_mask:0xf// 00000000F3FC: 0BEB2AFA FF0055FD
	v_mul_f32_dpp v246, v253, v150 quad_perm:[2,2,2,2] row_mask:0xf bank_mask:0xf// 00000000F404: 0BED2CFA FF00AAFD
	v_mul_f32_dpp v247, v253, v151 quad_perm:[3,3,3,3] row_mask:0xf bank_mask:0xf// 00000000F40C: 0BEF2EFA FF00FFFD
	v_mul_f32_dpp v248, v254, v152 quad_perm:[0,0,0,0] row_mask:0xf bank_mask:0xf// 00000000F414: 0BF130FA FF0000FE
	v_mul_f32_dpp v249, v254, v153 quad_perm:[1,1,1,1] row_mask:0xf bank_mask:0xf// 00000000F41C: 0BF332FA FF0055FE
	v_mul_f32_dpp v250, v254, v154 quad_perm:[2,2,2,2] row_mask:0xf bank_mask:0xf// 00000000F424: 0BF534FA FF00AAFE
	v_mul_f32_dpp v251, v254, v155 quad_perm:[3,3,3,3] row_mask:0xf bank_mask:0xf// 00000000F42C: 0BF736FA FF00FFFE
	v_mul_f32_dpp v252, v255, v156 quad_perm:[0,0,0,0] row_mask:0xf bank_mask:0xf// 00000000F434: 0BF938FA FF0000FF
	v_mul_f32_dpp v253, v255, v157 quad_perm:[1,1,1,1] row_mask:0xf bank_mask:0xf// 00000000F43C: 0BFB3AFA FF0055FF
	v_mul_f32_dpp v254, v255, v158 quad_perm:[2,2,2,2] row_mask:0xf bank_mask:0xf// 00000000F444: 0BFD3CFA FF00AAFF
	v_mul_f32_dpp v255, v255, v159 quad_perm:[3,3,3,3] row_mask:0xf bank_mask:0xf// 00000000F44C: 0BFF3EFA FF00FFFF
	v_mov_b32_e32 v62, 0x358637bd                              // 00000000F454: 7E7C02FF 358637BD
	v_max3_f32 v62, |v240|, |v241|, v62                        // 00000000F45C: D1D3033E 04FBE3F0
	v_max3_f32 v62, |v242|, |v243|, v62                        // 00000000F464: D1D3033E 04FBE7F2
	v_max3_f32 v62, |v244|, |v245|, v62                        // 00000000F46C: D1D3033E 04FBEBF4
	v_max3_f32 v62, |v246|, |v247|, v62                        // 00000000F474: D1D3033E 04FBEFF6
	v_max3_f32 v62, |v248|, |v249|, v62                        // 00000000F47C: D1D3033E 04FBF3F8
	v_max3_f32 v62, |v250|, |v251|, v62                        // 00000000F484: D1D3033E 04FBF7FA
	v_max3_f32 v62, |v252|, |v253|, v62                        // 00000000F48C: D1D3033E 04FBFBFC
	v_max3_f32 v62, |v254|, |v255|, v62                        // 00000000F494: D1D3033E 04FBFFFE
	ds_write_b32 v11, v62 offset:20992                         // 00000000F49C: D81A5200 00003E0B
	v_sub_f32_e32 v64, v15, v18                                // 00000000F4A4: 0480250F
	v_cndmask_b32_e64 v64, v64, 0, s[40:41]                    // 00000000F4A8: D1000040 00A10140
	v_mov_b32_e32 v15, v18                                     // 00000000F4B0: 7E1E0312
	v_mul_f32_e32 v64, s64, v64                                // 00000000F4B4: 0A808040
	v_exp_f32_e32 v64, v64                                     // 00000000F4B8: 7E804140
	s_waitcnt lgkmcnt(0)                                       // 00000000F4BC: BF8CC07F
	s_barrier                                                  // 00000000F4C0: BF8A0000
	ds_read_b32 v80, v10 offset:20992                          // 00000000F4C4: D86C5200 5000000A
	ds_read_b32 v81, v10 offset:21056                          // 00000000F4CC: D86C5240 5100000A
	ds_read_b32 v82, v10 offset:21120                          // 00000000F4D4: D86C5280 5200000A
	ds_read_b32 v83, v10 offset:21184                          // 00000000F4DC: D86C52C0 5300000A
	ds_read_b32 v84, v10 offset:21248                          // 00000000F4E4: D86C5300 5400000A
	ds_read_b32 v85, v10 offset:21312                          // 00000000F4EC: D86C5340 5500000A
	ds_read_b32 v86, v10 offset:21376                          // 00000000F4F4: D86C5380 5600000A
	ds_read_b32 v87, v10 offset:21440                          // 00000000F4FC: D86C53C0 5700000A
	ds_read_b32 v88, v10 offset:21504                          // 00000000F504: D86C5400 5800000A
	ds_read_b32 v89, v10 offset:21568                          // 00000000F50C: D86C5440 5900000A
	ds_read_b32 v90, v10 offset:21632                          // 00000000F514: D86C5480 5A00000A
	ds_read_b32 v91, v10 offset:21696                          // 00000000F51C: D86C54C0 5B00000A
	ds_read_b32 v92, v10 offset:21760                          // 00000000F524: D86C5500 5C00000A
	ds_read_b32 v93, v10 offset:21824                          // 00000000F52C: D86C5540 5D00000A
	ds_read_b32 v94, v10 offset:21888                          // 00000000F534: D86C5580 5E00000A
	ds_read_b32 v95, v10 offset:21952                          // 00000000F53C: D86C55C0 5F00000A
	v_mul_f32_e32 v48, v64, v48                                // 00000000F544: 0A606140
	v_mov_b32_e32 v18, v144                                    // 00000000F548: 7E240390
	v_add_f32_e32 v18, v145, v18                               // 00000000F54C: 02242591
	v_add_f32_e32 v18, v146, v18                               // 00000000F550: 02242592
	v_add_f32_e32 v18, v147, v18                               // 00000000F554: 02242593
	v_add_f32_e32 v18, v148, v18                               // 00000000F558: 02242594
	v_add_f32_e32 v18, v149, v18                               // 00000000F55C: 02242595
	v_add_f32_e32 v18, v150, v18                               // 00000000F560: 02242596
	v_add_f32_e32 v18, v151, v18                               // 00000000F564: 02242597
	v_add_f32_e32 v18, v152, v18                               // 00000000F568: 02242598
	v_add_f32_e32 v18, v153, v18                               // 00000000F56C: 02242599
	v_add_f32_e32 v18, v154, v18                               // 00000000F570: 0224259A
	v_add_f32_e32 v18, v155, v18                               // 00000000F574: 0224259B
	v_add_f32_e32 v18, v156, v18                               // 00000000F578: 0224259C
	v_add_f32_e32 v18, v157, v18                               // 00000000F57C: 0224259D
	v_add_f32_e32 v18, v158, v18                               // 00000000F580: 0224259E
	v_add_f32_e32 v18, v159, v18                               // 00000000F584: 0224259F
	v_add_f32_e32 v48, v18, v48                                // 00000000F588: 02606112
	s_waitcnt lgkmcnt(0)                                       // 00000000F58C: BF8CC07F
	v_max3_f32 v62, |v80|, |v81|, v62                          // 00000000F590: D1D3033E 04FAA350
	v_max3_f32 v62, |v82|, |v83|, v62                          // 00000000F598: D1D3033E 04FAA752
	v_max3_f32 v62, |v84|, |v85|, v62                          // 00000000F5A0: D1D3033E 04FAAB54
	v_max3_f32 v62, |v86|, |v87|, v62                          // 00000000F5A8: D1D3033E 04FAAF56
	v_max3_f32 v62, |v88|, |v89|, v62                          // 00000000F5B0: D1D3033E 04FAB358
	v_max3_f32 v62, |v90|, |v91|, v62                          // 00000000F5B8: D1D3033E 04FAB75A
	v_max3_f32 v62, |v92|, |v93|, v62                          // 00000000F5C0: D1D3033E 04FABB5C
	v_max3_f32 v62, |v94|, |v95|, v62                          // 00000000F5C8: D1D3033E 04FABF5E
	s_nop 2                                                    // 00000000F5D0: BF800002
	v_rcp_f32_e32 v62, v62                                     // 00000000F5D4: 7E7C453E
	s_nop 1                                                    // 00000000F5D8: BF800001
	v_mul_f32_e32 v62, 0x42fe0000, v62                         // 00000000F5DC: 0A7C7CFF 42FE0000
	v_mul_f32_e32 v144, v62, v240                              // 00000000F5E4: 0B21E13E
	v_mul_f32_e32 v145, v62, v241                              // 00000000F5E8: 0B23E33E
	v_mul_f32_e32 v146, v62, v242                              // 00000000F5EC: 0B25E53E
	v_mul_f32_e32 v147, v62, v243                              // 00000000F5F0: 0B27E73E
	v_mul_f32_e32 v148, v62, v244                              // 00000000F5F4: 0B29E93E
	v_mul_f32_e32 v149, v62, v245                              // 00000000F5F8: 0B2BEB3E
	v_mul_f32_e32 v150, v62, v246                              // 00000000F5FC: 0B2DED3E
	v_mul_f32_e32 v151, v62, v247                              // 00000000F600: 0B2FEF3E
	v_mul_f32_e32 v152, v62, v248                              // 00000000F604: 0B31F13E
	v_mul_f32_e32 v153, v62, v249                              // 00000000F608: 0B33F33E
	v_mul_f32_e32 v154, v62, v250                              // 00000000F60C: 0B35F53E
	v_mul_f32_e32 v155, v62, v251                              // 00000000F610: 0B37F73E
	v_mul_f32_e32 v156, v62, v252                              // 00000000F614: 0B39F93E
	v_mul_f32_e32 v157, v62, v253                              // 00000000F618: 0B3BFB3E
	v_mul_f32_e32 v158, v62, v254                              // 00000000F61C: 0B3DFD3E
	v_mul_f32_e32 v159, v62, v255                              // 00000000F620: 0B3FFF3E
	v_cvt_i32_f32_e32 v144, v144                               // 00000000F624: 7F201190
	v_cvt_i32_f32_e32 v145, v145                               // 00000000F628: 7F221191
	v_cvt_i32_f32_e32 v146, v146                               // 00000000F62C: 7F241192
	v_cvt_i32_f32_e32 v147, v147                               // 00000000F630: 7F261193
	v_cvt_i32_f32_e32 v148, v148                               // 00000000F634: 7F281194
	v_cvt_i32_f32_e32 v149, v149                               // 00000000F638: 7F2A1195
	v_cvt_i32_f32_e32 v150, v150                               // 00000000F63C: 7F2C1196
	v_cvt_i32_f32_e32 v151, v151                               // 00000000F640: 7F2E1197
	v_cvt_i32_f32_e32 v152, v152                               // 00000000F644: 7F301198
	v_cvt_i32_f32_e32 v153, v153                               // 00000000F648: 7F321199
	v_cvt_i32_f32_e32 v154, v154                               // 00000000F64C: 7F34119A
	v_cvt_i32_f32_e32 v155, v155                               // 00000000F650: 7F36119B
	v_cvt_i32_f32_e32 v156, v156                               // 00000000F654: 7F38119C
	v_cvt_i32_f32_e32 v157, v157                               // 00000000F658: 7F3A119D
	v_cvt_i32_f32_e32 v158, v158                               // 00000000F65C: 7F3C119E
	v_cvt_i32_f32_e32 v159, v159                               // 00000000F660: 7F3E119F
	v_perm_b32 v144, v145, v144, s53                           // 00000000F664: D1ED0090 00D72191
	v_perm_b32 v144, v146, v144, s54                           // 00000000F66C: D1ED0090 00DB2192
	v_perm_b32 v144, v147, v144, s55                           // 00000000F674: D1ED0090 00DF2193
	v_perm_b32 v145, v149, v148, s53                           // 00000000F67C: D1ED0091 00D72995
	v_perm_b32 v145, v150, v145, s54                           // 00000000F684: D1ED0091 00DB2396
	v_perm_b32 v145, v151, v145, s55                           // 00000000F68C: D1ED0091 00DF2397
	v_perm_b32 v146, v153, v152, s53                           // 00000000F694: D1ED0092 00D73199
	v_perm_b32 v146, v154, v146, s54                           // 00000000F69C: D1ED0092 00DB259A
	v_perm_b32 v146, v155, v146, s55                           // 00000000F6A4: D1ED0092 00DF259B
	v_perm_b32 v147, v157, v156, s53                           // 00000000F6AC: D1ED0093 00D7399D
	v_perm_b32 v147, v158, v147, s54                           // 00000000F6B4: D1ED0093 00DB279E
	v_perm_b32 v147, v159, v147, s55                           // 00000000F6BC: D1ED0093 00DF279F
	ds_write_b32 v13, v144 offset:29184                        // 00000000F6C4: D81A7200 0000900D
	ds_write_b32 v13, v145 offset:30208                        // 00000000F6CC: D81A7600 0000910D
	ds_write_b32 v13, v146 offset:31232                        // 00000000F6D4: D81A7A00 0000920D
	ds_write_b32 v13, v147 offset:32256                        // 00000000F6DC: D81A7E00 0000930D
	v_add_f32_e32 v232, v232, v200                             // 00000000F6E4: 03D191E8
	v_add_f32_e32 v233, v233, v201                             // 00000000F6E8: 03D393E9
	v_add_f32_e32 v234, v234, v202                             // 00000000F6EC: 03D595EA
	v_add_f32_e32 v235, v235, v203                             // 00000000F6F0: 03D797EB
	v_add_f32_e32 v236, v236, v204                             // 00000000F6F4: 03D999EC
	v_add_f32_e32 v237, v237, v205                             // 00000000F6F8: 03DB9BED
	v_add_f32_e32 v238, v238, v206                             // 00000000F6FC: 03DD9DEE
	v_add_f32_e32 v239, v239, v207                             // 00000000F700: 03DF9FEF
	v_rcp_f32_e32 v59, v62                                     // 00000000F704: 7E76453E
	s_waitcnt lgkmcnt(0)                                       // 00000000F708: BF8CC07F
	s_barrier                                                  // 00000000F70C: BF8A0000
	ds_read_b64 v[144:145], v12 offset:29184                   // 00000000F710: D8EC7200 9000000C
	ds_read_b64 v[146:147], v12 offset:29312                   // 00000000F718: D8EC7280 9200000C
	ds_read_b64 v[148:149], v12 offset:30208                   // 00000000F720: D8EC7600 9400000C
	ds_read_b64 v[150:151], v12 offset:30336                   // 00000000F728: D8EC7680 9600000C
	ds_read_b64 v[152:153], v12 offset:31232                   // 00000000F730: D8EC7A00 9800000C
	ds_read_b64 v[154:155], v12 offset:31360                   // 00000000F738: D8EC7A80 9A00000C
	ds_read_b64 v[156:157], v12 offset:32256                   // 00000000F740: D8EC7E00 9C00000C
	ds_read_b64 v[158:159], v12 offset:32384                   // 00000000F748: D8EC7E80 9E00000C
	s_waitcnt vmcnt(15)                                        // 00000000F750: BF8C0F7F
	v_mfma_i32_16x16x32_i8 v[192:195], a[64:65], v[128:129], 0 // 00000000F754: D3D700C0 0A030140
	buffer_load_dwordx4 a[112:115], v37, s[20:23], 0 offen offset:1024// 00000000F75C: E05C1400 80857025
	v_mfma_i32_16x16x32_i8 v[192:195], a[66:67], v[130:131], v[192:195]// 00000000F764: D3D700C0 0F030542
	v_mfma_i32_16x16x32_i8 v[192:195], a[68:69], v[132:133], v[192:195]// 00000000F76C: D3D700C0 0F030944
	v_mfma_i32_16x16x32_i8 v[192:195], a[70:71], v[134:135], v[192:195]// 00000000F774: D3D700C0 0F030D46
	v_mfma_i32_16x16x32_i8 v[192:195], a[72:73], v[136:137], v[192:195]// 00000000F77C: D3D700C0 0F031148
	buffer_load_dwordx4 a[116:119], v38, s[20:23], 0 offen offset:1024// 00000000F784: E05C1400 80857426
	v_mfma_i32_16x16x32_i8 v[192:195], a[74:75], v[138:139], v[192:195]// 00000000F78C: D3D700C0 0F03154A
	v_mfma_i32_16x16x32_i8 v[192:195], a[76:77], v[140:141], v[192:195]// 00000000F794: D3D700C0 0F03194C
	v_mfma_i32_16x16x32_i8 v[192:195], a[78:79], v[142:143], v[192:195]// 00000000F79C: D3D700C0 0F031D4E
	v_mfma_i32_16x16x32_i8 v[196:199], a[80:81], v[128:129], 0 // 00000000F7A4: D3D700C4 0A030150
	buffer_load_dwordx4 a[120:123], v39, s[20:23], 0 offen offset:1024// 00000000F7AC: E05C1400 80857827
	v_mfma_i32_16x16x32_i8 v[196:199], a[82:83], v[130:131], v[196:199]// 00000000F7B4: D3D700C4 0F130552
	v_mfma_i32_16x16x32_i8 v[196:199], a[84:85], v[132:133], v[196:199]// 00000000F7BC: D3D700C4 0F130954
	v_mfma_i32_16x16x32_i8 v[196:199], a[86:87], v[134:135], v[196:199]// 00000000F7C4: D3D700C4 0F130D56
	v_mfma_i32_16x16x32_i8 v[196:199], a[88:89], v[136:137], v[196:199]// 00000000F7CC: D3D700C4 0F131158
	buffer_load_dwordx4 a[124:127], v40, s[20:23], 0 offen offset:1024// 00000000F7D4: E05C1400 80857C28
	v_mfma_i32_16x16x32_i8 v[196:199], a[90:91], v[138:139], v[196:199]// 00000000F7DC: D3D700C4 0F13155A
	v_mfma_i32_16x16x32_i8 v[196:199], a[92:93], v[140:141], v[196:199]// 00000000F7E4: D3D700C4 0F13195C
	s_lshr_b32 s57, s70, 4                                     // 00000000F7EC: 8F398446
	s_add_u32 s57, 48, s57                                     // 00000000F7F0: 803939B0
	v_mfma_i32_16x16x32_i8 v[196:199], a[94:95], v[142:143], v[196:199]// 00000000F7F4: D3D700C4 0F131D5E
	s_cmp_ge_u32 s57, s73                                      // 00000000F7FC: BF094939
	s_cselect_b32 s56, 0, s56                                  // 00000000F800: 85383880
	v_mfma_i32_16x16x32_i8 v[200:203], a[64:65], v[144:145], 0 // 00000000F804: D3D700C8 0A032140
	v_mfma_i32_16x16x32_i8 v[200:203], a[66:67], v[146:147], v[200:203]// 00000000F80C: D3D700C8 0F232542
	v_mfma_i32_16x16x32_i8 v[200:203], a[68:69], v[148:149], v[200:203]// 00000000F814: D3D700C8 0F232944
	v_mfma_i32_16x16x32_i8 v[200:203], a[70:71], v[150:151], v[200:203]// 00000000F81C: D3D700C8 0F232D46
	v_mfma_i32_16x16x32_i8 v[200:203], a[72:73], v[152:153], v[200:203]// 00000000F824: D3D700C8 0F233148
	v_mfma_i32_16x16x32_i8 v[200:203], a[74:75], v[154:155], v[200:203]// 00000000F82C: D3D700C8 0F23354A
	v_mfma_i32_16x16x32_i8 v[200:203], a[76:77], v[156:157], v[200:203]// 00000000F834: D3D700C8 0F23394C
	v_mfma_i32_16x16x32_i8 v[200:203], a[78:79], v[158:159], v[200:203]// 00000000F83C: D3D700C8 0F233D4E
	v_mfma_i32_16x16x32_i8 v[204:207], a[80:81], v[144:145], 0 // 00000000F844: D3D700CC 0A032150
	v_mfma_i32_16x16x32_i8 v[204:207], a[82:83], v[146:147], v[204:207]// 00000000F84C: D3D700CC 0F332552
	v_mfma_i32_16x16x32_i8 v[204:207], a[84:85], v[148:149], v[204:207]// 00000000F854: D3D700CC 0F332954
	v_mfma_i32_16x16x32_i8 v[204:207], a[86:87], v[150:151], v[204:207]// 00000000F85C: D3D700CC 0F332D56
	v_mfma_i32_16x16x32_i8 v[204:207], a[88:89], v[152:153], v[204:207]// 00000000F864: D3D700CC 0F333158
	v_mfma_i32_16x16x32_i8 v[204:207], a[90:91], v[154:155], v[204:207]// 00000000F86C: D3D700CC 0F33355A
	v_mfma_i32_16x16x32_i8 v[204:207], a[92:93], v[156:157], v[204:207]// 00000000F874: D3D700CC 0F33395C
	v_mfma_i32_16x16x32_i8 v[204:207], a[94:95], v[158:159], v[204:207]// 00000000F87C: D3D700CC 0F333D5E
	v_add_u32_e32 v1, s56, v1                                  // 00000000F884: 68020238
	s_addk_i32 s70, 0x100                                      // 00000000F888: B7460100
	s_cmp_lt_i32 s70, s71                                      // 00000000F88C: BF044746
	s_cbranch_scc0 label_3019                                  // 00000000F890: BF84FA74
	s_waitcnt vmcnt(8) lgkmcnt(0)                              // 00000000F894: BF8C0078
	v_mul_u32_u24_dpp v41, v19, v68 row_newbcast:0 row_mask:0xf bank_mask:0xf// 00000000F898: 105288FA FF015013
	v_mul_u32_u24_dpp v42, v19, v68 row_newbcast:4 row_mask:0xf bank_mask:0xf// 00000000F8A0: 105488FA FF015413
	v_mul_u32_u24_dpp v43, v19, v68 row_newbcast:8 row_mask:0xf bank_mask:0xf// 00000000F8A8: 105688FA FF015813
	v_mul_u32_u24_dpp v44, v19, v68 row_newbcast:12 row_mask:0xf bank_mask:0xf// 00000000F8B0: 105888FA FF015C13
	v_add_u32_e32 v25, v41, v6                                 // 00000000F8B8: 68320D29
	v_add_u32_e32 v26, v42, v6                                 // 00000000F8BC: 68340D2A
	v_add_u32_e32 v27, v43, v6                                 // 00000000F8C0: 68360D2B
	v_add_u32_e32 v28, v44, v6                                 // 00000000F8C4: 68380D2C
	v_mul_u32_u24_dpp v41, v19, v78 quad_perm:[0,0,0,0] row_mask:0xf bank_mask:0xf// 00000000F8C8: 10529CFA FF000013
	v_add_u32_e32 v2, v41, v74                                 // 00000000F8D0: 68049529
	v_mul_u32_u24_dpp v41, v19, v78 quad_perm:[0,0,0,0] row_mask:0xf bank_mask:0xf// 00000000F8D4: 10529CFA FF000013
	v_add_u32_e32 v70, v41, v75                                // 00000000F8DC: 688C9729
	v_mfma_i32_16x16x32_i8 v[128:131], a[32:33], v[96:97], 0   // 00000000F8E0: D3D70080 0A02C120
	buffer_load_dwordx4 a[0:3], v25, s[16:19], 0 offen         // 00000000F8E8: E05C1000 80840019
	v_mfma_i32_16x16x32_i8 v[128:131], a[34:35], v[98:99], v[128:131]// 00000000F8F0: D3D70080 0E02C522
	v_mfma_i32_16x16x32_i8 v[128:131], a[36:37], v[100:101], v[128:131]// 00000000F8F8: D3D70080 0E02C924
	buffer_load_dword v20, v1, s[24:27], 0 offen               // 00000000F900: E0501000 80061401
	v_mfma_i32_16x16x32_i8 v[128:131], a[38:39], v[102:103], v[128:131]// 00000000F908: D3D70080 0E02CD26
	v_mfma_i32_16x16x32_i8 v[132:135], a[40:41], v[96:97], 0   // 00000000F910: D3D70084 0A02C128
	buffer_load_dwordx4 a[4:7], v25, s[16:19], 0 offen offset:1024// 00000000F918: E05C1400 80840419
	v_mfma_i32_16x16x32_i8 v[132:135], a[42:43], v[98:99], v[132:135]// 00000000F920: D3D70084 0E12C52A
	v_mfma_i32_16x16x32_i8 v[132:135], a[44:45], v[100:101], v[132:135]// 00000000F928: D3D70084 0E12C92C
	v_mfma_i32_16x16x32_i8 v[132:135], a[46:47], v[102:103], v[132:135]// 00000000F930: D3D70084 0E12CD2E
	v_mfma_i32_16x16x32_i8 v[136:139], a[48:49], v[96:97], 0   // 00000000F938: D3D70088 0A02C130
	buffer_load_dwordx4 a[8:11], v26, s[16:19], 0 offen        // 00000000F940: E05C1000 8084081A
	v_mfma_i32_16x16x32_i8 v[136:139], a[50:51], v[98:99], v[136:139]// 00000000F948: D3D70088 0E22C532
	v_mfma_i32_16x16x32_i8 v[136:139], a[52:53], v[100:101], v[136:139]// 00000000F950: D3D70088 0E22C934
	v_mfma_i32_16x16x32_i8 v[136:139], a[54:55], v[102:103], v[136:139]// 00000000F958: D3D70088 0E22CD36
	v_mfma_i32_16x16x32_i8 v[140:143], a[56:57], v[96:97], 0   // 00000000F960: D3D7008C 0A02C138
	buffer_load_dwordx4 a[12:15], v26, s[16:19], 0 offen offset:1024// 00000000F968: E05C1400 80840C1A
	v_mfma_i32_16x16x32_i8 v[140:143], a[58:59], v[98:99], v[140:143]// 00000000F970: D3D7008C 0E32C53A
	v_mfma_i32_16x16x32_i8 v[140:143], a[60:61], v[100:101], v[140:143]// 00000000F978: D3D7008C 0E32C93C
	v_mfma_i32_16x16x32_i8 v[140:143], a[62:63], v[102:103], v[140:143]// 00000000F980: D3D7008C 0E32CD3E
	v_mfma_i32_16x16x32_i8 v[144:147], a[32:33], v[104:105], 0 // 00000000F988: D3D70090 0A02D120
	v_mfma_i32_16x16x32_i8 v[144:147], a[34:35], v[106:107], v[144:147]// 00000000F990: D3D70090 0E42D522
	v_mfma_i32_16x16x32_i8 v[144:147], a[36:37], v[108:109], v[144:147]// 00000000F998: D3D70090 0E42D924
	v_mfma_i32_16x16x32_i8 v[144:147], a[38:39], v[110:111], v[144:147]// 00000000F9A0: D3D70090 0E42DD26
	v_mfma_i32_16x16x32_i8 v[148:151], a[40:41], v[104:105], 0 // 00000000F9A8: D3D70094 0A02D128
	v_mfma_i32_16x16x32_i8 v[148:151], a[42:43], v[106:107], v[148:151]// 00000000F9B0: D3D70094 0E52D52A
	v_mfma_i32_16x16x32_i8 v[148:151], a[44:45], v[108:109], v[148:151]// 00000000F9B8: D3D70094 0E52D92C
	v_mfma_i32_16x16x32_i8 v[148:151], a[46:47], v[110:111], v[148:151]// 00000000F9C0: D3D70094 0E52DD2E
	v_mfma_i32_16x16x32_i8 v[152:155], a[48:49], v[104:105], 0 // 00000000F9C8: D3D70098 0A02D130
	v_mfma_i32_16x16x32_i8 v[152:155], a[50:51], v[106:107], v[152:155]// 00000000F9D0: D3D70098 0E62D532
	v_mfma_i32_16x16x32_i8 v[152:155], a[52:53], v[108:109], v[152:155]// 00000000F9D8: D3D70098 0E62D934
	v_mfma_i32_16x16x32_i8 v[152:155], a[54:55], v[110:111], v[152:155]// 00000000F9E0: D3D70098 0E62DD36
	v_mfma_i32_16x16x32_i8 v[156:159], a[56:57], v[104:105], 0 // 00000000F9E8: D3D7009C 0A02D138
	v_mfma_i32_16x16x32_i8 v[156:159], a[58:59], v[106:107], v[156:159]// 00000000F9F0: D3D7009C 0E72D53A
	v_mfma_i32_16x16x32_i8 v[156:159], a[60:61], v[108:109], v[156:159]// 00000000F9F8: D3D7009C 0E72D93C
	v_mfma_i32_16x16x32_i8 v[156:159], a[62:63], v[110:111], v[156:159]// 00000000FA00: D3D7009C 0E72DD3E
	buffer_load_dword v52, v2, s[32:35], 0 offen               // 00000000FA08: E0501000 80083402
	v_mov_b32_dpp v41, v53 row_shr:4 row_mask:0xf bank_mask:0xf// 00000000FA10: 7E5202FA FF011435
	v_mov_b32_dpp v42, v53 row_shl:4 row_mask:0xf bank_mask:0xf// 00000000FA18: 7E5402FA FF010435
	v_cndmask_b32_e64 v248, v53, v41, s[44:45]                 // 00000000FA20: D10000F8 00B25335
	v_cndmask_b32_e64 v249, v42, v53, s[44:45]                 // 00000000FA28: D10000F9 00B26B2A
	v_mov_b32_dpp v41, v248 row_shr:8 row_mask:0xf bank_mask:0xf// 00000000FA30: 7E5202FA FF0118F8
	v_mov_b32_dpp v42, v248 row_shl:8 row_mask:0xf bank_mask:0xf// 00000000FA38: 7E5402FA FF0108F8
	v_mov_b32_dpp v43, v249 row_shr:8 row_mask:0xf bank_mask:0xf// 00000000FA40: 7E5602FA FF0118F9
	v_mov_b32_dpp v44, v249 row_shl:8 row_mask:0xf bank_mask:0xf// 00000000FA48: 7E5802FA FF0108F9
	v_mov_b32_e32 v45, v248                                    // 00000000FA50: 7E5A03F8
	v_mov_b32_e32 v46, v249                                    // 00000000FA54: 7E5C03F9
	v_cndmask_b32_e64 v248, v45, v41, s[42:43]                 // 00000000FA58: D10000F8 00AA532D
	v_cndmask_b32_e64 v250, v45, v42, s[78:79]                 // 00000000FA60: D10000FA 013A552D
	v_cndmask_b32_e64 v249, v46, v43, s[42:43]                 // 00000000FA68: D10000F9 00AA572E
	v_cndmask_b32_e64 v251, v46, v44, s[78:79]                 // 00000000FA70: D10000FB 013A592E
	v_mov_b32_dpp v41, v73 row_shr:4 row_mask:0xf bank_mask:0xf// 00000000FA78: 7E5202FA FF011449
	v_mov_b32_dpp v42, v73 row_shl:4 row_mask:0xf bank_mask:0xf// 00000000FA80: 7E5402FA FF010449
	v_cndmask_b32_e64 v252, v73, v41, s[44:45]                 // 00000000FA88: D10000FC 00B25349
	v_cndmask_b32_e64 v253, v42, v73, s[44:45]                 // 00000000FA90: D10000FD 00B2932A
	v_mov_b32_dpp v41, v252 row_shr:8 row_mask:0xf bank_mask:0xf// 00000000FA98: 7E5202FA FF0118FC
	v_mov_b32_dpp v42, v252 row_shl:8 row_mask:0xf bank_mask:0xf// 00000000FAA0: 7E5402FA FF0108FC
	v_mov_b32_dpp v43, v253 row_shr:8 row_mask:0xf bank_mask:0xf// 00000000FAA8: 7E5602FA FF0118FD
	v_mov_b32_dpp v44, v253 row_shl:8 row_mask:0xf bank_mask:0xf// 00000000FAB0: 7E5802FA FF0108FD
	v_mov_b32_e32 v45, v252                                    // 00000000FAB8: 7E5A03FC
	v_mov_b32_e32 v46, v253                                    // 00000000FABC: 7E5C03FD
	v_cndmask_b32_e64 v252, v45, v41, s[42:43]                 // 00000000FAC0: D10000FC 00AA532D
	v_cndmask_b32_e64 v254, v45, v42, s[78:79]                 // 00000000FAC8: D10000FE 013A552D
	v_cndmask_b32_e64 v253, v46, v43, s[42:43]                 // 00000000FAD0: D10000FD 00AA572E
	v_cndmask_b32_e64 v255, v46, v44, s[78:79]                 // 00000000FAD8: D10000FF 013A592E
	buffer_load_dword v72, v70, s[36:39], 0 offen              // 00000000FAE0: E0501000 80094846
	v_cvt_f32_i32_e32 v128, v128                               // 00000000FAE8: 7F000B80
	v_cvt_f32_i32_e32 v129, v129                               // 00000000FAEC: 7F020B81
	v_cvt_f32_i32_e32 v130, v130                               // 00000000FAF0: 7F040B82
	v_cvt_f32_i32_e32 v131, v131                               // 00000000FAF4: 7F060B83
	v_cvt_f32_i32_e32 v132, v132                               // 00000000FAF8: 7F080B84
	v_cvt_f32_i32_e32 v133, v133                               // 00000000FAFC: 7F0A0B85
	v_cvt_f32_i32_e32 v134, v134                               // 00000000FB00: 7F0C0B86
	v_cvt_f32_i32_e32 v135, v135                               // 00000000FB04: 7F0E0B87
	v_cvt_f32_i32_e32 v136, v136                               // 00000000FB08: 7F100B88
	v_cvt_f32_i32_e32 v137, v137                               // 00000000FB0C: 7F120B89
	v_cvt_f32_i32_e32 v138, v138                               // 00000000FB10: 7F140B8A
	v_cvt_f32_i32_e32 v139, v139                               // 00000000FB14: 7F160B8B
	v_cvt_f32_i32_e32 v140, v140                               // 00000000FB18: 7F180B8C
	v_cvt_f32_i32_e32 v141, v141                               // 00000000FB1C: 7F1A0B8D
	v_cvt_f32_i32_e32 v142, v142                               // 00000000FB20: 7F1C0B8E
	v_cvt_f32_i32_e32 v143, v143                               // 00000000FB24: 7F1E0B8F
	v_mul_f32_e32 v128, v54, v128                              // 00000000FB28: 0B010136
	v_mul_f32_e32 v129, v54, v129                              // 00000000FB2C: 0B030336
	v_mul_f32_e32 v130, v54, v130                              // 00000000FB30: 0B050536
	v_mul_f32_e32 v131, v54, v131                              // 00000000FB34: 0B070736
	v_mul_f32_e32 v132, v54, v132                              // 00000000FB38: 0B090936
	v_mul_f32_e32 v133, v54, v133                              // 00000000FB3C: 0B0B0B36
	v_mul_f32_e32 v134, v54, v134                              // 00000000FB40: 0B0D0D36
	v_mul_f32_e32 v135, v54, v135                              // 00000000FB44: 0B0F0F36
	v_mul_f32_e32 v136, v54, v136                              // 00000000FB48: 0B111136
	v_mul_f32_e32 v137, v54, v137                              // 00000000FB4C: 0B131336
	v_mul_f32_e32 v138, v54, v138                              // 00000000FB50: 0B151536
	v_mul_f32_e32 v139, v54, v139                              // 00000000FB54: 0B171736
	v_mul_f32_e32 v140, v54, v140                              // 00000000FB58: 0B191936
	v_mul_f32_e32 v141, v54, v141                              // 00000000FB5C: 0B1B1B36
	v_mul_f32_e32 v142, v54, v142                              // 00000000FB60: 0B1D1D36
	v_mul_f32_e32 v143, v54, v143                              // 00000000FB64: 0B1F1F36
	buffer_load_dwordx4 a[16:19], v27, s[16:19], 0 offen       // 00000000FB68: E05C1000 8084101B
	v_mul_f32_dpp v128, v248, v128 quad_perm:[0,0,0,0] row_mask:0xf bank_mask:0xf// 00000000FB70: 0B0100FA FF0000F8
	v_mul_f32_dpp v129, v248, v129 quad_perm:[1,1,1,1] row_mask:0xf bank_mask:0xf// 00000000FB78: 0B0302FA FF0055F8
	v_mul_f32_dpp v130, v248, v130 quad_perm:[2,2,2,2] row_mask:0xf bank_mask:0xf// 00000000FB80: 0B0504FA FF00AAF8
	v_mul_f32_dpp v131, v248, v131 quad_perm:[3,3,3,3] row_mask:0xf bank_mask:0xf// 00000000FB88: 0B0706FA FF00FFF8
	v_mul_f32_dpp v132, v249, v132 quad_perm:[0,0,0,0] row_mask:0xf bank_mask:0xf// 00000000FB90: 0B0908FA FF0000F9
	v_mul_f32_dpp v133, v249, v133 quad_perm:[1,1,1,1] row_mask:0xf bank_mask:0xf// 00000000FB98: 0B0B0AFA FF0055F9
	v_mul_f32_dpp v134, v249, v134 quad_perm:[2,2,2,2] row_mask:0xf bank_mask:0xf// 00000000FBA0: 0B0D0CFA FF00AAF9
	v_mul_f32_dpp v135, v249, v135 quad_perm:[3,3,3,3] row_mask:0xf bank_mask:0xf// 00000000FBA8: 0B0F0EFA FF00FFF9
	v_mul_f32_dpp v136, v250, v136 quad_perm:[0,0,0,0] row_mask:0xf bank_mask:0xf// 00000000FBB0: 0B1110FA FF0000FA
	v_mul_f32_dpp v137, v250, v137 quad_perm:[1,1,1,1] row_mask:0xf bank_mask:0xf// 00000000FBB8: 0B1312FA FF0055FA
	v_mul_f32_dpp v138, v250, v138 quad_perm:[2,2,2,2] row_mask:0xf bank_mask:0xf// 00000000FBC0: 0B1514FA FF00AAFA
	v_mul_f32_dpp v139, v250, v139 quad_perm:[3,3,3,3] row_mask:0xf bank_mask:0xf// 00000000FBC8: 0B1716FA FF00FFFA
	v_mul_f32_dpp v140, v251, v140 quad_perm:[0,0,0,0] row_mask:0xf bank_mask:0xf// 00000000FBD0: 0B1918FA FF0000FB
	v_mul_f32_dpp v141, v251, v141 quad_perm:[1,1,1,1] row_mask:0xf bank_mask:0xf// 00000000FBD8: 0B1B1AFA FF0055FB
	v_mul_f32_dpp v142, v251, v142 quad_perm:[2,2,2,2] row_mask:0xf bank_mask:0xf// 00000000FBE0: 0B1D1CFA FF00AAFB
	v_mul_f32_dpp v143, v251, v143 quad_perm:[3,3,3,3] row_mask:0xf bank_mask:0xf// 00000000FBE8: 0B1F1EFA FF00FFFB
	buffer_load_dwordx4 a[20:23], v27, s[16:19], 0 offen offset:1024// 00000000FBF0: E05C1400 8084141B
	s_cmp_le_i32 s90, s89                                      // 00000000FBF8: BF05595A
	s_cbranch_scc1 label_36F3                                  // 00000000FBFC: BF850073
	v_mov_b32_e32 v69, 0xff800000                              // 00000000FC00: 7E8A02FF FF800000
	s_mov_b32 s60, s90                                         // 00000000FC08: BEBC005A
	s_add_u32 s61, s89, 0xff                                   // 00000000FC0C: 803DFF59 000000FF
	v_mov_b32_e32 v41, s61                                     // 00000000FC14: 7E52023D
	v_lshrrev_b32_e32 v240, 4, v0                              // 00000000FC18: 21E00084
	v_mul_i32_i24_e32 v240, 4, v240                            // 00000000FC1C: 0DE1E084
	v_add_u32_e32 v240, s60, v240                              // 00000000FC20: 69E1E03C
	v_and_b32_e32 v42, 15, v0                                  // 00000000FC24: 2654008F
	v_lshrrev_b32_e32 v42, 3, v42                              // 00000000FC28: 20545483
	s_mov_b32 s61, 0                                           // 00000000FC2C: BEBD0080
	s_mul_i32 s60, 16, s7                                      // 00000000FC30: 923C0790
	v_add_u32_e32 v42, s61, v42                                // 00000000FC34: 6854543D
	v_sub_u32_e32 v240, v240, v42                              // 00000000FC38: 6BE055F0
	v_add_u32_e32 v240, s60, v240                              // 00000000FC3C: 69E1E03C
	v_add_u32_e32 v241, 1, v240                                // 00000000FC40: 69E3E081
	v_add_u32_e32 v242, 2, v240                                // 00000000FC44: 69E5E082
	v_add_u32_e32 v243, 3, v240                                // 00000000FC48: 69E7E083
	v_cmp_le_u32_e64 s[40:41], v240, v41                       // 00000000FC4C: D0CB0028 000253F0
	v_add_u32_e32 v240, 64, v240                               // 00000000FC54: 69E1E0C0
	s_nop 0                                                    // 00000000FC58: BF800000
	v_cndmask_b32_e64 v128, v69, v128, s[40:41]                // 00000000FC5C: D1000080 00A30145
	v_cmp_le_u32_e64 s[40:41], v241, v41                       // 00000000FC64: D0CB0028 000253F1
	v_add_u32_e32 v241, 64, v241                               // 00000000FC6C: 69E3E2C0
	s_nop 0                                                    // 00000000FC70: BF800000
	v_cndmask_b32_e64 v129, v69, v129, s[40:41]                // 00000000FC74: D1000081 00A30345
	v_cmp_le_u32_e64 s[40:41], v242, v41                       // 00000000FC7C: D0CB0028 000253F2
	v_add_u32_e32 v242, 64, v242                               // 00000000FC84: 69E5E4C0
	s_nop 0                                                    // 00000000FC88: BF800000
	v_cndmask_b32_e64 v130, v69, v130, s[40:41]                // 00000000FC8C: D1000082 00A30545
	v_cmp_le_u32_e64 s[40:41], v243, v41                       // 00000000FC94: D0CB0028 000253F3
	v_add_u32_e32 v243, 64, v243                               // 00000000FC9C: 69E7E6C0
	s_nop 0                                                    // 00000000FCA0: BF800000
	v_cndmask_b32_e64 v131, v69, v131, s[40:41]                // 00000000FCA4: D1000083 00A30745
	v_cmp_le_u32_e64 s[40:41], v240, v41                       // 00000000FCAC: D0CB0028 000253F0
	v_add_u32_e32 v240, 64, v240                               // 00000000FCB4: 69E1E0C0
	s_nop 0                                                    // 00000000FCB8: BF800000
	v_cndmask_b32_e64 v132, v69, v132, s[40:41]                // 00000000FCBC: D1000084 00A30945
	v_cmp_le_u32_e64 s[40:41], v241, v41                       // 00000000FCC4: D0CB0028 000253F1
	v_add_u32_e32 v241, 64, v241                               // 00000000FCCC: 69E3E2C0
	s_nop 0                                                    // 00000000FCD0: BF800000
	v_cndmask_b32_e64 v133, v69, v133, s[40:41]                // 00000000FCD4: D1000085 00A30B45
	v_cmp_le_u32_e64 s[40:41], v242, v41                       // 00000000FCDC: D0CB0028 000253F2
	v_add_u32_e32 v242, 64, v242                               // 00000000FCE4: 69E5E4C0
	s_nop 0                                                    // 00000000FCE8: BF800000
	v_cndmask_b32_e64 v134, v69, v134, s[40:41]                // 00000000FCEC: D1000086 00A30D45
	v_cmp_le_u32_e64 s[40:41], v243, v41                       // 00000000FCF4: D0CB0028 000253F3
	v_add_u32_e32 v243, 64, v243                               // 00000000FCFC: 69E7E6C0
	s_nop 0                                                    // 00000000FD00: BF800000
	v_cndmask_b32_e64 v135, v69, v135, s[40:41]                // 00000000FD04: D1000087 00A30F45
	v_cmp_le_u32_e64 s[40:41], v240, v41                       // 00000000FD0C: D0CB0028 000253F0
	v_add_u32_e32 v240, 64, v240                               // 00000000FD14: 69E1E0C0
	s_nop 0                                                    // 00000000FD18: BF800000
	v_cndmask_b32_e64 v136, v69, v136, s[40:41]                // 00000000FD1C: D1000088 00A31145
	v_cmp_le_u32_e64 s[40:41], v241, v41                       // 00000000FD24: D0CB0028 000253F1
	v_add_u32_e32 v241, 64, v241                               // 00000000FD2C: 69E3E2C0
	s_nop 0                                                    // 00000000FD30: BF800000
	v_cndmask_b32_e64 v137, v69, v137, s[40:41]                // 00000000FD34: D1000089 00A31345
	v_cmp_le_u32_e64 s[40:41], v242, v41                       // 00000000FD3C: D0CB0028 000253F2
	v_add_u32_e32 v242, 64, v242                               // 00000000FD44: 69E5E4C0
	s_nop 0                                                    // 00000000FD48: BF800000
	v_cndmask_b32_e64 v138, v69, v138, s[40:41]                // 00000000FD4C: D100008A 00A31545
	v_cmp_le_u32_e64 s[40:41], v243, v41                       // 00000000FD54: D0CB0028 000253F3
	v_add_u32_e32 v243, 64, v243                               // 00000000FD5C: 69E7E6C0
	s_nop 0                                                    // 00000000FD60: BF800000
	v_cndmask_b32_e64 v139, v69, v139, s[40:41]                // 00000000FD64: D100008B 00A31745
	v_cmp_le_u32_e64 s[40:41], v240, v41                       // 00000000FD6C: D0CB0028 000253F0
	v_add_u32_e32 v240, 64, v240                               // 00000000FD74: 69E1E0C0
	s_nop 0                                                    // 00000000FD78: BF800000
	v_cndmask_b32_e64 v140, v69, v140, s[40:41]                // 00000000FD7C: D100008C 00A31945
	v_cmp_le_u32_e64 s[40:41], v241, v41                       // 00000000FD84: D0CB0028 000253F1
	v_add_u32_e32 v241, 64, v241                               // 00000000FD8C: 69E3E2C0
	s_nop 0                                                    // 00000000FD90: BF800000
	v_cndmask_b32_e64 v141, v69, v141, s[40:41]                // 00000000FD94: D100008D 00A31B45
	v_cmp_le_u32_e64 s[40:41], v242, v41                       // 00000000FD9C: D0CB0028 000253F2
	v_add_u32_e32 v242, 64, v242                               // 00000000FDA4: 69E5E4C0
	s_nop 0                                                    // 00000000FDA8: BF800000
	v_cndmask_b32_e64 v142, v69, v142, s[40:41]                // 00000000FDAC: D100008E 00A31D45
	v_cmp_le_u32_e64 s[40:41], v243, v41                       // 00000000FDB4: D0CB0028 000253F3
	v_add_u32_e32 v243, 64, v243                               // 00000000FDBC: 69E7E6C0
	s_nop 0                                                    // 00000000FDC0: BF800000
	v_cndmask_b32_e64 v143, v69, v143, s[40:41]                // 00000000FDC4: D100008F 00A31F45

000000000000fdcc <label_36F3>:
	v_mov_b32_e32 v62, v128                                    // 00000000FDCC: 7E7C0380
	v_max3_f32 v62, v128, v129, v62                            // 00000000FDD0: D1D3003E 04FB0380
	v_max3_f32 v62, v130, v131, v62                            // 00000000FDD8: D1D3003E 04FB0782
	v_max3_f32 v62, v132, v133, v62                            // 00000000FDE0: D1D3003E 04FB0B84
	v_max3_f32 v62, v134, v135, v62                            // 00000000FDE8: D1D3003E 04FB0F86
	v_max3_f32 v62, v136, v137, v62                            // 00000000FDF0: D1D3003E 04FB1388
	v_max3_f32 v62, v138, v139, v62                            // 00000000FDF8: D1D3003E 04FB178A
	v_max3_f32 v62, v140, v141, v62                            // 00000000FE00: D1D3003E 04FB1B8C
	v_max3_f32 v62, v142, v143, v62                            // 00000000FE08: D1D3003E 04FB1F8E
	ds_write_b32 v11, v62 offset:16896                         // 00000000FE10: D81A4200 00003E0B
	buffer_load_dwordx4 a[24:27], v28, s[16:19], 0 offen       // 00000000FE18: E05C1000 8084181C
	v_mul_u32_u24_dpp v41, v19, v68 row_newbcast:1 row_mask:0xf bank_mask:0xf// 00000000FE20: 105288FA FF015113
	v_mul_u32_u24_dpp v42, v19, v68 row_newbcast:5 row_mask:0xf bank_mask:0xf// 00000000FE28: 105488FA FF015513
	v_mul_u32_u24_dpp v43, v19, v68 row_newbcast:9 row_mask:0xf bank_mask:0xf// 00000000FE30: 105688FA FF015913
	v_mul_u32_u24_dpp v44, v19, v68 row_newbcast:13 row_mask:0xf bank_mask:0xf// 00000000FE38: 105888FA FF015D13
	v_add_u32_e32 v33, v41, v7                                 // 00000000FE40: 68420F29
	v_add_u32_e32 v34, v42, v7                                 // 00000000FE44: 68440F2A
	v_add_u32_e32 v35, v43, v7                                 // 00000000FE48: 68460F2B
	v_add_u32_e32 v36, v44, v7                                 // 00000000FE4C: 68480F2C
	v_mul_f32_e32 v224, v63, v224                              // 00000000FE50: 0BC1C13F
	v_mul_f32_e32 v225, v63, v225                              // 00000000FE54: 0BC3C33F
	v_mul_f32_e32 v226, v63, v226                              // 00000000FE58: 0BC5C53F
	v_mul_f32_e32 v227, v63, v227                              // 00000000FE5C: 0BC7C73F
	v_mul_f32_e32 v228, v63, v228                              // 00000000FE60: 0BC9C93F
	v_mul_f32_e32 v229, v63, v229                              // 00000000FE64: 0BCBCB3F
	v_mul_f32_e32 v230, v63, v230                              // 00000000FE68: 0BCDCD3F
	v_mul_f32_e32 v231, v63, v231                              // 00000000FE6C: 0BCFCF3F
	s_waitcnt lgkmcnt(0)                                       // 00000000FE70: BF8CC07F
	s_barrier                                                  // 00000000FE74: BF8A0000
	ds_read_b32 v80, v10 offset:16896                          // 00000000FE78: D86C4200 5000000A
	ds_read_b32 v81, v10 offset:16960                          // 00000000FE80: D86C4240 5100000A
	ds_read_b32 v82, v10 offset:17024                          // 00000000FE88: D86C4280 5200000A
	ds_read_b32 v83, v10 offset:17088                          // 00000000FE90: D86C42C0 5300000A
	ds_read_b32 v84, v10 offset:17152                          // 00000000FE98: D86C4300 5400000A
	ds_read_b32 v85, v10 offset:17216                          // 00000000FEA0: D86C4340 5500000A
	ds_read_b32 v86, v10 offset:17280                          // 00000000FEA8: D86C4380 5600000A
	ds_read_b32 v87, v10 offset:17344                          // 00000000FEB0: D86C43C0 5700000A
	ds_read_b32 v88, v10 offset:17408                          // 00000000FEB8: D86C4400 5800000A
	ds_read_b32 v89, v10 offset:17472                          // 00000000FEC0: D86C4440 5900000A
	ds_read_b32 v90, v10 offset:17536                          // 00000000FEC8: D86C4480 5A00000A
	ds_read_b32 v91, v10 offset:17600                          // 00000000FED0: D86C44C0 5B00000A
	ds_read_b32 v92, v10 offset:17664                          // 00000000FED8: D86C4500 5C00000A
	ds_read_b32 v93, v10 offset:17728                          // 00000000FEE0: D86C4540 5D00000A
	ds_read_b32 v94, v10 offset:17792                          // 00000000FEE8: D86C4580 5E00000A
	ds_read_b32 v95, v10 offset:17856                          // 00000000FEF0: D86C45C0 5F00000A
	buffer_load_dwordx4 a[28:31], v28, s[16:19], 0 offen offset:1024// 00000000FEF8: E05C1400 80841C1C
	v_cvt_f32_i32_e32 v192, v192                               // 00000000FF00: 7F800BC0
	v_cvt_f32_i32_e32 v193, v193                               // 00000000FF04: 7F820BC1
	v_cvt_f32_i32_e32 v194, v194                               // 00000000FF08: 7F840BC2
	v_cvt_f32_i32_e32 v195, v195                               // 00000000FF0C: 7F860BC3
	v_cvt_f32_i32_e32 v196, v196                               // 00000000FF10: 7F880BC4
	v_cvt_f32_i32_e32 v197, v197                               // 00000000FF14: 7F8A0BC5
	v_cvt_f32_i32_e32 v198, v198                               // 00000000FF18: 7F8C0BC6
	v_cvt_f32_i32_e32 v199, v199                               // 00000000FF1C: 7F8E0BC7
	v_mul_f32_e32 v192, v58, v192                              // 00000000FF20: 0B81813A
	v_mul_f32_e32 v193, v58, v193                              // 00000000FF24: 0B83833A
	v_mul_f32_e32 v194, v58, v194                              // 00000000FF28: 0B85853A
	v_mul_f32_e32 v195, v58, v195                              // 00000000FF2C: 0B87873A
	v_mul_f32_e32 v196, v58, v196                              // 00000000FF30: 0B89893A
	v_mul_f32_e32 v197, v58, v197                              // 00000000FF34: 0B8B8B3A
	v_mul_f32_e32 v198, v58, v198                              // 00000000FF38: 0B8D8D3A
	v_mul_f32_e32 v199, v58, v199                              // 00000000FF3C: 0B8F8F3A
	s_waitcnt lgkmcnt(0)                                       // 00000000FF40: BF8CC07F
	v_max3_f32 v62, v80, v81, v62                              // 00000000FF44: D1D3003E 04FAA350
	v_max3_f32 v62, v82, v83, v62                              // 00000000FF4C: D1D3003E 04FAA752
	v_max3_f32 v62, v84, v85, v62                              // 00000000FF54: D1D3003E 04FAAB54
	v_max3_f32 v62, v86, v87, v62                              // 00000000FF5C: D1D3003E 04FAAF56
	v_max3_f32 v62, v88, v89, v62                              // 00000000FF64: D1D3003E 04FAB358
	v_max3_f32 v62, v90, v91, v62                              // 00000000FF6C: D1D3003E 04FAB75A
	v_max3_f32 v62, v92, v93, v62                              // 00000000FF74: D1D3003E 04FABB5C
	v_max3_f32 v62, v94, v95, v62                              // 00000000FF7C: D1D3003E 04FABF5E
	buffer_load_dwordx4 a[64:67], v33, s[20:23], 0 offen       // 00000000FF84: E05C1000 80854021
	v_mov_b32_e32 v41, 0xff800000                              // 00000000FF8C: 7E5202FF FF800000
	v_cmp_eq_u32_e64 s[40:41], v41, v14                        // 00000000FF94: D0CA0028 00021D29
	s_nop 1                                                    // 00000000FF9C: BF800001
	v_max_f32_e32 v18, v62, v14                                // 00000000FFA0: 16241D3E
	v_mul_f32_e32 v67, s64, v18                                // 00000000FFA4: 0A862440
	v_fma_f32 v128, v128, s64, -v67                            // 00000000FFA8: D1CB0080 850C8180
	v_fma_f32 v129, v129, s64, -v67                            // 00000000FFB0: D1CB0081 850C8181
	v_fma_f32 v130, v130, s64, -v67                            // 00000000FFB8: D1CB0082 850C8182
	v_fma_f32 v131, v131, s64, -v67                            // 00000000FFC0: D1CB0083 850C8183
	v_fma_f32 v132, v132, s64, -v67                            // 00000000FFC8: D1CB0084 850C8184
	v_fma_f32 v133, v133, s64, -v67                            // 00000000FFD0: D1CB0085 850C8185
	v_fma_f32 v134, v134, s64, -v67                            // 00000000FFD8: D1CB0086 850C8186
	v_fma_f32 v135, v135, s64, -v67                            // 00000000FFE0: D1CB0087 850C8187
	v_fma_f32 v136, v136, s64, -v67                            // 00000000FFE8: D1CB0088 850C8188
	v_fma_f32 v137, v137, s64, -v67                            // 00000000FFF0: D1CB0089 850C8189
	v_fma_f32 v138, v138, s64, -v67                            // 00000000FFF8: D1CB008A 850C818A
	v_fma_f32 v139, v139, s64, -v67                            // 000000010000: D1CB008B 850C818B
	v_fma_f32 v140, v140, s64, -v67                            // 000000010008: D1CB008C 850C818C
	v_fma_f32 v141, v141, s64, -v67                            // 000000010010: D1CB008D 850C818D
	v_fma_f32 v142, v142, s64, -v67                            // 000000010018: D1CB008E 850C818E
	v_fma_f32 v143, v143, s64, -v67                            // 000000010020: D1CB008F 850C818F
	buffer_load_dwordx4 a[68:71], v34, s[20:23], 0 offen       // 000000010028: E05C1000 80854422
	v_exp_f32_e32 v128, v128                                   // 000000010030: 7F004180
	v_exp_f32_e32 v129, v129                                   // 000000010034: 7F024181
	v_exp_f32_e32 v130, v130                                   // 000000010038: 7F044182
	v_exp_f32_e32 v131, v131                                   // 00000001003C: 7F064183
	v_exp_f32_e32 v132, v132                                   // 000000010040: 7F084184
	v_exp_f32_e32 v133, v133                                   // 000000010044: 7F0A4185
	v_exp_f32_e32 v134, v134                                   // 000000010048: 7F0C4186
	v_exp_f32_e32 v135, v135                                   // 00000001004C: 7F0E4187
	v_exp_f32_e32 v136, v136                                   // 000000010050: 7F104188
	v_exp_f32_e32 v137, v137                                   // 000000010054: 7F124189
	v_exp_f32_e32 v138, v138                                   // 000000010058: 7F14418A
	v_exp_f32_e32 v139, v139                                   // 00000001005C: 7F16418B
	v_exp_f32_e32 v140, v140                                   // 000000010060: 7F18418C
	v_exp_f32_e32 v141, v141                                   // 000000010064: 7F1A418D
	v_exp_f32_e32 v142, v142                                   // 000000010068: 7F1C418E
	v_exp_f32_e32 v143, v143                                   // 00000001006C: 7F1E418F
	buffer_load_dwordx4 a[72:75], v35, s[20:23], 0 offen       // 000000010070: E05C1000 80854823
	v_mul_f32_dpp v240, v252, v128 quad_perm:[0,0,0,0] row_mask:0xf bank_mask:0xf// 000000010078: 0BE100FA FF0000FC
	v_mul_f32_dpp v241, v252, v129 quad_perm:[1,1,1,1] row_mask:0xf bank_mask:0xf// 000000010080: 0BE302FA FF0055FC
	v_mul_f32_dpp v242, v252, v130 quad_perm:[2,2,2,2] row_mask:0xf bank_mask:0xf// 000000010088: 0BE504FA FF00AAFC
	v_mul_f32_dpp v243, v252, v131 quad_perm:[3,3,3,3] row_mask:0xf bank_mask:0xf// 000000010090: 0BE706FA FF00FFFC
	v_mul_f32_dpp v244, v253, v132 quad_perm:[0,0,0,0] row_mask:0xf bank_mask:0xf// 000000010098: 0BE908FA FF0000FD
	v_mul_f32_dpp v245, v253, v133 quad_perm:[1,1,1,1] row_mask:0xf bank_mask:0xf// 0000000100A0: 0BEB0AFA FF0055FD
	v_mul_f32_dpp v246, v253, v134 quad_perm:[2,2,2,2] row_mask:0xf bank_mask:0xf// 0000000100A8: 0BED0CFA FF00AAFD
	v_mul_f32_dpp v247, v253, v135 quad_perm:[3,3,3,3] row_mask:0xf bank_mask:0xf// 0000000100B0: 0BEF0EFA FF00FFFD
	v_mul_f32_dpp v248, v254, v136 quad_perm:[0,0,0,0] row_mask:0xf bank_mask:0xf// 0000000100B8: 0BF110FA FF0000FE
	v_mul_f32_dpp v249, v254, v137 quad_perm:[1,1,1,1] row_mask:0xf bank_mask:0xf// 0000000100C0: 0BF312FA FF0055FE
	v_mul_f32_dpp v250, v254, v138 quad_perm:[2,2,2,2] row_mask:0xf bank_mask:0xf// 0000000100C8: 0BF514FA FF00AAFE
	v_mul_f32_dpp v251, v254, v139 quad_perm:[3,3,3,3] row_mask:0xf bank_mask:0xf// 0000000100D0: 0BF716FA FF00FFFE
	v_mul_f32_dpp v252, v255, v140 quad_perm:[0,0,0,0] row_mask:0xf bank_mask:0xf// 0000000100D8: 0BF918FA FF0000FF
	v_mul_f32_dpp v253, v255, v141 quad_perm:[1,1,1,1] row_mask:0xf bank_mask:0xf// 0000000100E0: 0BFB1AFA FF0055FF
	v_mul_f32_dpp v254, v255, v142 quad_perm:[2,2,2,2] row_mask:0xf bank_mask:0xf// 0000000100E8: 0BFD1CFA FF00AAFF
	v_mul_f32_dpp v255, v255, v143 quad_perm:[3,3,3,3] row_mask:0xf bank_mask:0xf// 0000000100F0: 0BFF1EFA FF00FFFF
	v_mov_b32_e32 v62, 0x358637bd                              // 0000000100F8: 7E7C02FF 358637BD
	v_max3_f32 v62, |v240|, |v241|, v62                        // 000000010100: D1D3033E 04FBE3F0
	v_max3_f32 v62, |v242|, |v243|, v62                        // 000000010108: D1D3033E 04FBE7F2
	v_max3_f32 v62, |v244|, |v245|, v62                        // 000000010110: D1D3033E 04FBEBF4
	v_max3_f32 v62, |v246|, |v247|, v62                        // 000000010118: D1D3033E 04FBEFF6
	v_max3_f32 v62, |v248|, |v249|, v62                        // 000000010120: D1D3033E 04FBF3F8
	v_max3_f32 v62, |v250|, |v251|, v62                        // 000000010128: D1D3033E 04FBF7FA
	v_max3_f32 v62, |v252|, |v253|, v62                        // 000000010130: D1D3033E 04FBFBFC
	v_max3_f32 v62, |v254|, |v255|, v62                        // 000000010138: D1D3033E 04FBFFFE
	buffer_load_dwordx4 a[76:79], v36, s[20:23], 0 offen       // 000000010140: E05C1000 80854C24
	ds_write_b32 v11, v62 offset:20992                         // 000000010148: D81A5200 00003E0B
	v_sub_f32_e32 v63, v14, v18                                // 000000010150: 047E250E
	v_cndmask_b32_e64 v63, v63, 0, s[40:41]                    // 000000010154: D100003F 00A1013F
	v_mov_b32_e32 v14, v18                                     // 00000001015C: 7E1C0312
	v_mul_f32_e32 v63, s64, v63                                // 000000010160: 0A7E7E40
	v_exp_f32_e32 v63, v63                                     // 000000010164: 7E7E413F
	s_waitcnt lgkmcnt(0)                                       // 000000010168: BF8CC07F
	s_barrier                                                  // 00000001016C: BF8A0000
	ds_read_b32 v80, v10 offset:20992                          // 000000010170: D86C5200 5000000A
	ds_read_b32 v81, v10 offset:21056                          // 000000010178: D86C5240 5100000A
	ds_read_b32 v82, v10 offset:21120                          // 000000010180: D86C5280 5200000A
	ds_read_b32 v83, v10 offset:21184                          // 000000010188: D86C52C0 5300000A
	ds_read_b32 v84, v10 offset:21248                          // 000000010190: D86C5300 5400000A
	ds_read_b32 v85, v10 offset:21312                          // 000000010198: D86C5340 5500000A
	ds_read_b32 v86, v10 offset:21376                          // 0000000101A0: D86C5380 5600000A
	ds_read_b32 v87, v10 offset:21440                          // 0000000101A8: D86C53C0 5700000A
	ds_read_b32 v88, v10 offset:21504                          // 0000000101B0: D86C5400 5800000A
	ds_read_b32 v89, v10 offset:21568                          // 0000000101B8: D86C5440 5900000A
	ds_read_b32 v90, v10 offset:21632                          // 0000000101C0: D86C5480 5A00000A
	ds_read_b32 v91, v10 offset:21696                          // 0000000101C8: D86C54C0 5B00000A
	ds_read_b32 v92, v10 offset:21760                          // 0000000101D0: D86C5500 5C00000A
	ds_read_b32 v93, v10 offset:21824                          // 0000000101D8: D86C5540 5D00000A
	ds_read_b32 v94, v10 offset:21888                          // 0000000101E0: D86C5580 5E00000A
	ds_read_b32 v95, v10 offset:21952                          // 0000000101E8: D86C55C0 5F00000A
	v_mul_f32_e32 v47, v63, v47                                // 0000000101F0: 0A5E5F3F
	v_mov_b32_e32 v18, v128                                    // 0000000101F4: 7E240380
	v_add_f32_e32 v18, v129, v18                               // 0000000101F8: 02242581
	v_add_f32_e32 v18, v130, v18                               // 0000000101FC: 02242582
	v_add_f32_e32 v18, v131, v18                               // 000000010200: 02242583
	v_add_f32_e32 v18, v132, v18                               // 000000010204: 02242584
	;; [unrolled: 1-line block ×3, first 2 shown]
	v_add_f32_e32 v18, v134, v18                               // 00000001020C: 02242586
	v_add_f32_e32 v18, v135, v18                               // 000000010210: 02242587
	v_add_f32_e32 v18, v136, v18                               // 000000010214: 02242588
	;; [unrolled: 1-line block ×3, first 2 shown]
	v_add_f32_e32 v18, v138, v18                               // 00000001021C: 0224258A
	v_add_f32_e32 v18, v139, v18                               // 000000010220: 0224258B
	v_add_f32_e32 v18, v140, v18                               // 000000010224: 0224258C
	v_add_f32_e32 v18, v141, v18                               // 000000010228: 0224258D
	v_add_f32_e32 v18, v142, v18                               // 00000001022C: 0224258E
	v_add_f32_e32 v18, v143, v18                               // 000000010230: 0224258F
	v_add_f32_e32 v47, v18, v47                                // 000000010234: 025E5F12
	s_waitcnt lgkmcnt(0)                                       // 000000010238: BF8CC07F
	v_max3_f32 v62, |v80|, |v81|, v62                          // 00000001023C: D1D3033E 04FAA350
	v_max3_f32 v62, |v82|, |v83|, v62                          // 000000010244: D1D3033E 04FAA752
	v_max3_f32 v62, |v84|, |v85|, v62                          // 00000001024C: D1D3033E 04FAAB54
	v_max3_f32 v62, |v86|, |v87|, v62                          // 000000010254: D1D3033E 04FAAF56
	v_max3_f32 v62, |v88|, |v89|, v62                          // 00000001025C: D1D3033E 04FAB358
	v_max3_f32 v62, |v90|, |v91|, v62                          // 000000010264: D1D3033E 04FAB75A
	v_max3_f32 v62, |v92|, |v93|, v62                          // 00000001026C: D1D3033E 04FABB5C
	v_max3_f32 v62, |v94|, |v95|, v62                          // 000000010274: D1D3033E 04FABF5E
	s_nop 2                                                    // 00000001027C: BF800002
	v_rcp_f32_e32 v62, v62                                     // 000000010280: 7E7C453E
	s_nop 1                                                    // 000000010284: BF800001
	v_mul_f32_e32 v62, 0x42fe0000, v62                         // 000000010288: 0A7C7CFF 42FE0000
	v_mul_f32_e32 v128, v62, v240                              // 000000010290: 0B01E13E
	v_mul_f32_e32 v129, v62, v241                              // 000000010294: 0B03E33E
	v_mul_f32_e32 v130, v62, v242                              // 000000010298: 0B05E53E
	v_mul_f32_e32 v131, v62, v243                              // 00000001029C: 0B07E73E
	v_mul_f32_e32 v132, v62, v244                              // 0000000102A0: 0B09E93E
	v_mul_f32_e32 v133, v62, v245                              // 0000000102A4: 0B0BEB3E
	v_mul_f32_e32 v134, v62, v246                              // 0000000102A8: 0B0DED3E
	v_mul_f32_e32 v135, v62, v247                              // 0000000102AC: 0B0FEF3E
	v_mul_f32_e32 v136, v62, v248                              // 0000000102B0: 0B11F13E
	v_mul_f32_e32 v137, v62, v249                              // 0000000102B4: 0B13F33E
	v_mul_f32_e32 v138, v62, v250                              // 0000000102B8: 0B15F53E
	v_mul_f32_e32 v139, v62, v251                              // 0000000102BC: 0B17F73E
	v_mul_f32_e32 v140, v62, v252                              // 0000000102C0: 0B19F93E
	v_mul_f32_e32 v141, v62, v253                              // 0000000102C4: 0B1BFB3E
	v_mul_f32_e32 v142, v62, v254                              // 0000000102C8: 0B1DFD3E
	v_mul_f32_e32 v143, v62, v255                              // 0000000102CC: 0B1FFF3E
	v_cvt_i32_f32_e32 v128, v128                               // 0000000102D0: 7F001180
	v_cvt_i32_f32_e32 v129, v129                               // 0000000102D4: 7F021181
	v_cvt_i32_f32_e32 v130, v130                               // 0000000102D8: 7F041182
	v_cvt_i32_f32_e32 v131, v131                               // 0000000102DC: 7F061183
	v_cvt_i32_f32_e32 v132, v132                               // 0000000102E0: 7F081184
	v_cvt_i32_f32_e32 v133, v133                               // 0000000102E4: 7F0A1185
	v_cvt_i32_f32_e32 v134, v134                               // 0000000102E8: 7F0C1186
	v_cvt_i32_f32_e32 v135, v135                               // 0000000102EC: 7F0E1187
	v_cvt_i32_f32_e32 v136, v136                               // 0000000102F0: 7F101188
	v_cvt_i32_f32_e32 v137, v137                               // 0000000102F4: 7F121189
	v_cvt_i32_f32_e32 v138, v138                               // 0000000102F8: 7F14118A
	v_cvt_i32_f32_e32 v139, v139                               // 0000000102FC: 7F16118B
	v_cvt_i32_f32_e32 v140, v140                               // 000000010300: 7F18118C
	v_cvt_i32_f32_e32 v141, v141                               // 000000010304: 7F1A118D
	v_cvt_i32_f32_e32 v142, v142                               // 000000010308: 7F1C118E
	v_cvt_i32_f32_e32 v143, v143                               // 00000001030C: 7F1E118F
	v_perm_b32 v128, v129, v128, s53                           // 000000010310: D1ED0080 00D70181
	v_perm_b32 v128, v130, v128, s54                           // 000000010318: D1ED0080 00DB0182
	v_perm_b32 v128, v131, v128, s55                           // 000000010320: D1ED0080 00DF0183
	v_perm_b32 v129, v133, v132, s53                           // 000000010328: D1ED0081 00D70985
	v_perm_b32 v129, v134, v129, s54                           // 000000010330: D1ED0081 00DB0386
	v_perm_b32 v129, v135, v129, s55                           // 000000010338: D1ED0081 00DF0387
	v_perm_b32 v130, v137, v136, s53                           // 000000010340: D1ED0082 00D71189
	v_perm_b32 v130, v138, v130, s54                           // 000000010348: D1ED0082 00DB058A
	v_perm_b32 v130, v139, v130, s55                           // 000000010350: D1ED0082 00DF058B
	v_perm_b32 v131, v141, v140, s53                           // 000000010358: D1ED0083 00D7198D
	v_perm_b32 v131, v142, v131, s54                           // 000000010360: D1ED0083 00DB078E
	v_perm_b32 v131, v143, v131, s55                           // 000000010368: D1ED0083 00DF078F
	ds_write_b32 v13, v128 offset:25088                        // 000000010370: D81A6200 0000800D
	ds_write_b32 v13, v129 offset:26112                        // 000000010378: D81A6600 0000810D
	ds_write_b32 v13, v130 offset:27136                        // 000000010380: D81A6A00 0000820D
	ds_write_b32 v13, v131 offset:28160                        // 000000010388: D81A6E00 0000830D
	v_add_f32_e32 v224, v224, v192                             // 000000010390: 03C181E0
	v_add_f32_e32 v225, v225, v193                             // 000000010394: 03C383E1
	v_add_f32_e32 v226, v226, v194                             // 000000010398: 03C585E2
	v_add_f32_e32 v227, v227, v195                             // 00000001039C: 03C787E3
	v_add_f32_e32 v228, v228, v196                             // 0000000103A0: 03C989E4
	v_add_f32_e32 v229, v229, v197                             // 0000000103A4: 03CB8BE5
	v_add_f32_e32 v230, v230, v198                             // 0000000103A8: 03CD8DE6
	v_add_f32_e32 v231, v231, v199                             // 0000000103AC: 03CF8FE7
	v_rcp_f32_e32 v58, v62                                     // 0000000103B0: 7E74453E
	s_waitcnt lgkmcnt(0)                                       // 0000000103B4: BF8CC07F
	s_barrier                                                  // 0000000103B8: BF8A0000
	ds_read_b64 v[128:129], v12 offset:25088                   // 0000000103BC: D8EC6200 8000000C
	ds_read_b64 v[130:131], v12 offset:25216                   // 0000000103C4: D8EC6280 8200000C
	ds_read_b64 v[132:133], v12 offset:26112                   // 0000000103CC: D8EC6600 8400000C
	ds_read_b64 v[134:135], v12 offset:26240                   // 0000000103D4: D8EC6680 8600000C
	ds_read_b64 v[136:137], v12 offset:27136                   // 0000000103DC: D8EC6A00 8800000C
	ds_read_b64 v[138:139], v12 offset:27264                   // 0000000103E4: D8EC6A80 8A00000C
	ds_read_b64 v[140:141], v12 offset:28160                   // 0000000103EC: D8EC6E00 8C00000C
	ds_read_b64 v[142:143], v12 offset:28288                   // 0000000103F4: D8EC6E80 8E00000C
	v_mov_b32_dpp v41, v53 row_shr:4 row_mask:0xf bank_mask:0xf// 0000000103FC: 7E5202FA FF011435
	v_mov_b32_dpp v42, v53 row_shl:4 row_mask:0xf bank_mask:0xf// 000000010404: 7E5402FA FF010435
	v_cndmask_b32_e64 v248, v53, v41, s[44:45]                 // 00000001040C: D10000F8 00B25335
	v_cndmask_b32_e64 v249, v42, v53, s[44:45]                 // 000000010414: D10000F9 00B26B2A
	v_mov_b32_dpp v41, v248 row_shr:8 row_mask:0xf bank_mask:0xf// 00000001041C: 7E5202FA FF0118F8
	v_mov_b32_dpp v42, v248 row_shl:8 row_mask:0xf bank_mask:0xf// 000000010424: 7E5402FA FF0108F8
	v_mov_b32_dpp v43, v249 row_shr:8 row_mask:0xf bank_mask:0xf// 00000001042C: 7E5602FA FF0118F9
	v_mov_b32_dpp v44, v249 row_shl:8 row_mask:0xf bank_mask:0xf// 000000010434: 7E5802FA FF0108F9
	v_mov_b32_e32 v45, v248                                    // 00000001043C: 7E5A03F8
	v_mov_b32_e32 v46, v249                                    // 000000010440: 7E5C03F9
	v_cndmask_b32_e64 v248, v45, v41, s[42:43]                 // 000000010444: D10000F8 00AA532D
	v_cndmask_b32_e64 v250, v45, v42, s[78:79]                 // 00000001044C: D10000FA 013A552D
	v_cndmask_b32_e64 v249, v46, v43, s[42:43]                 // 000000010454: D10000F9 00AA572E
	v_cndmask_b32_e64 v251, v46, v44, s[78:79]                 // 00000001045C: D10000FB 013A592E
	v_mov_b32_dpp v41, v73 row_shr:4 row_mask:0xf bank_mask:0xf// 000000010464: 7E5202FA FF011449
	v_mov_b32_dpp v42, v73 row_shl:4 row_mask:0xf bank_mask:0xf// 00000001046C: 7E5402FA FF010449
	v_cndmask_b32_e64 v252, v73, v41, s[44:45]                 // 000000010474: D10000FC 00B25349
	v_cndmask_b32_e64 v253, v42, v73, s[44:45]                 // 00000001047C: D10000FD 00B2932A
	v_mov_b32_dpp v41, v252 row_shr:8 row_mask:0xf bank_mask:0xf// 000000010484: 7E5202FA FF0118FC
	v_mov_b32_dpp v42, v252 row_shl:8 row_mask:0xf bank_mask:0xf// 00000001048C: 7E5402FA FF0108FC
	v_mov_b32_dpp v43, v253 row_shr:8 row_mask:0xf bank_mask:0xf// 000000010494: 7E5602FA FF0118FD
	v_mov_b32_dpp v44, v253 row_shl:8 row_mask:0xf bank_mask:0xf// 00000001049C: 7E5802FA FF0108FD
	v_mov_b32_e32 v45, v252                                    // 0000000104A4: 7E5A03FC
	v_mov_b32_e32 v46, v253                                    // 0000000104A8: 7E5C03FD
	v_cndmask_b32_e64 v252, v45, v41, s[42:43]                 // 0000000104AC: D10000FC 00AA532D
	v_cndmask_b32_e64 v254, v45, v42, s[78:79]                 // 0000000104B4: D10000FE 013A552D
	v_cndmask_b32_e64 v253, v46, v43, s[42:43]                 // 0000000104BC: D10000FD 00AA572E
	v_cndmask_b32_e64 v255, v46, v44, s[78:79]                 // 0000000104C4: D10000FF 013A592E
	v_cvt_f32_i32_e32 v144, v144                               // 0000000104CC: 7F200B90
	v_cvt_f32_i32_e32 v145, v145                               // 0000000104D0: 7F220B91
	v_cvt_f32_i32_e32 v146, v146                               // 0000000104D4: 7F240B92
	v_cvt_f32_i32_e32 v147, v147                               // 0000000104D8: 7F260B93
	v_cvt_f32_i32_e32 v148, v148                               // 0000000104DC: 7F280B94
	v_cvt_f32_i32_e32 v149, v149                               // 0000000104E0: 7F2A0B95
	v_cvt_f32_i32_e32 v150, v150                               // 0000000104E4: 7F2C0B96
	v_cvt_f32_i32_e32 v151, v151                               // 0000000104E8: 7F2E0B97
	v_cvt_f32_i32_e32 v152, v152                               // 0000000104EC: 7F300B98
	v_cvt_f32_i32_e32 v153, v153                               // 0000000104F0: 7F320B99
	v_cvt_f32_i32_e32 v154, v154                               // 0000000104F4: 7F340B9A
	v_cvt_f32_i32_e32 v155, v155                               // 0000000104F8: 7F360B9B
	v_cvt_f32_i32_e32 v156, v156                               // 0000000104FC: 7F380B9C
	v_cvt_f32_i32_e32 v157, v157                               // 000000010500: 7F3A0B9D
	v_cvt_f32_i32_e32 v158, v158                               // 000000010504: 7F3C0B9E
	v_cvt_f32_i32_e32 v159, v159                               // 000000010508: 7F3E0B9F
	v_mul_f32_e32 v144, v55, v144                              // 00000001050C: 0B212137
	v_mul_f32_e32 v145, v55, v145                              // 000000010510: 0B232337
	v_mul_f32_e32 v146, v55, v146                              // 000000010514: 0B252537
	v_mul_f32_e32 v147, v55, v147                              // 000000010518: 0B272737
	v_mul_f32_e32 v148, v55, v148                              // 00000001051C: 0B292937
	v_mul_f32_e32 v149, v55, v149                              // 000000010520: 0B2B2B37
	v_mul_f32_e32 v150, v55, v150                              // 000000010524: 0B2D2D37
	v_mul_f32_e32 v151, v55, v151                              // 000000010528: 0B2F2F37
	v_mul_f32_e32 v152, v55, v152                              // 00000001052C: 0B313137
	v_mul_f32_e32 v153, v55, v153                              // 000000010530: 0B333337
	v_mul_f32_e32 v154, v55, v154                              // 000000010534: 0B353537
	v_mul_f32_e32 v155, v55, v155                              // 000000010538: 0B373737
	v_mul_f32_e32 v156, v55, v156                              // 00000001053C: 0B393937
	v_mul_f32_e32 v157, v55, v157                              // 000000010540: 0B3B3B37
	v_mul_f32_e32 v158, v55, v158                              // 000000010544: 0B3D3D37
	v_mul_f32_e32 v159, v55, v159                              // 000000010548: 0B3F3F37
	v_mul_f32_dpp v144, v248, v144 quad_perm:[0,0,0,0] row_mask:0xf bank_mask:0xf// 00000001054C: 0B2120FA FF0000F8
	v_mul_f32_dpp v145, v248, v145 quad_perm:[1,1,1,1] row_mask:0xf bank_mask:0xf// 000000010554: 0B2322FA FF0055F8
	v_mul_f32_dpp v146, v248, v146 quad_perm:[2,2,2,2] row_mask:0xf bank_mask:0xf// 00000001055C: 0B2524FA FF00AAF8
	v_mul_f32_dpp v147, v248, v147 quad_perm:[3,3,3,3] row_mask:0xf bank_mask:0xf// 000000010564: 0B2726FA FF00FFF8
	v_mul_f32_dpp v148, v249, v148 quad_perm:[0,0,0,0] row_mask:0xf bank_mask:0xf// 00000001056C: 0B2928FA FF0000F9
	v_mul_f32_dpp v149, v249, v149 quad_perm:[1,1,1,1] row_mask:0xf bank_mask:0xf// 000000010574: 0B2B2AFA FF0055F9
	v_mul_f32_dpp v150, v249, v150 quad_perm:[2,2,2,2] row_mask:0xf bank_mask:0xf// 00000001057C: 0B2D2CFA FF00AAF9
	v_mul_f32_dpp v151, v249, v151 quad_perm:[3,3,3,3] row_mask:0xf bank_mask:0xf// 000000010584: 0B2F2EFA FF00FFF9
	v_mul_f32_dpp v152, v250, v152 quad_perm:[0,0,0,0] row_mask:0xf bank_mask:0xf// 00000001058C: 0B3130FA FF0000FA
	v_mul_f32_dpp v153, v250, v153 quad_perm:[1,1,1,1] row_mask:0xf bank_mask:0xf// 000000010594: 0B3332FA FF0055FA
	v_mul_f32_dpp v154, v250, v154 quad_perm:[2,2,2,2] row_mask:0xf bank_mask:0xf// 00000001059C: 0B3534FA FF00AAFA
	v_mul_f32_dpp v155, v250, v155 quad_perm:[3,3,3,3] row_mask:0xf bank_mask:0xf// 0000000105A4: 0B3736FA FF00FFFA
	v_mul_f32_dpp v156, v251, v156 quad_perm:[0,0,0,0] row_mask:0xf bank_mask:0xf// 0000000105AC: 0B3938FA FF0000FB
	v_mul_f32_dpp v157, v251, v157 quad_perm:[1,1,1,1] row_mask:0xf bank_mask:0xf// 0000000105B4: 0B3B3AFA FF0055FB
	v_mul_f32_dpp v158, v251, v158 quad_perm:[2,2,2,2] row_mask:0xf bank_mask:0xf// 0000000105BC: 0B3D3CFA FF00AAFB
	v_mul_f32_dpp v159, v251, v159 quad_perm:[3,3,3,3] row_mask:0xf bank_mask:0xf// 0000000105C4: 0B3F3EFA FF00FFFB
	s_cmp_le_i32 s90, s89                                      // 0000000105CC: BF05595A
	s_cbranch_scc1 label_3968                                  // 0000000105D0: BF850073
	v_mov_b32_e32 v69, 0xff800000                              // 0000000105D4: 7E8A02FF FF800000
	s_mov_b32 s60, s90                                         // 0000000105DC: BEBC005A
	s_add_u32 s61, s89, 0xff                                   // 0000000105E0: 803DFF59 000000FF
	v_mov_b32_e32 v41, s61                                     // 0000000105E8: 7E52023D
	v_lshrrev_b32_e32 v240, 4, v0                              // 0000000105EC: 21E00084
	v_mul_i32_i24_e32 v240, 4, v240                            // 0000000105F0: 0DE1E084
	v_add_u32_e32 v240, s60, v240                              // 0000000105F4: 69E1E03C
	v_and_b32_e32 v42, 15, v0                                  // 0000000105F8: 2654008F
	v_lshrrev_b32_e32 v42, 3, v42                              // 0000000105FC: 20545483
	s_mov_b32 s61, 2                                           // 000000010600: BEBD0082
	s_mul_i32 s60, 16, s7                                      // 000000010604: 923C0790
	v_add_u32_e32 v42, s61, v42                                // 000000010608: 6854543D
	v_sub_u32_e32 v240, v240, v42                              // 00000001060C: 6BE055F0
	v_add_u32_e32 v240, s60, v240                              // 000000010610: 69E1E03C
	v_add_u32_e32 v241, 1, v240                                // 000000010614: 69E3E081
	v_add_u32_e32 v242, 2, v240                                // 000000010618: 69E5E082
	v_add_u32_e32 v243, 3, v240                                // 00000001061C: 69E7E083
	v_cmp_le_u32_e64 s[40:41], v240, v41                       // 000000010620: D0CB0028 000253F0
	v_add_u32_e32 v240, 64, v240                               // 000000010628: 69E1E0C0
	s_nop 0                                                    // 00000001062C: BF800000
	v_cndmask_b32_e64 v144, v69, v144, s[40:41]                // 000000010630: D1000090 00A32145
	v_cmp_le_u32_e64 s[40:41], v241, v41                       // 000000010638: D0CB0028 000253F1
	v_add_u32_e32 v241, 64, v241                               // 000000010640: 69E3E2C0
	s_nop 0                                                    // 000000010644: BF800000
	v_cndmask_b32_e64 v145, v69, v145, s[40:41]                // 000000010648: D1000091 00A32345
	v_cmp_le_u32_e64 s[40:41], v242, v41                       // 000000010650: D0CB0028 000253F2
	v_add_u32_e32 v242, 64, v242                               // 000000010658: 69E5E4C0
	s_nop 0                                                    // 00000001065C: BF800000
	v_cndmask_b32_e64 v146, v69, v146, s[40:41]                // 000000010660: D1000092 00A32545
	v_cmp_le_u32_e64 s[40:41], v243, v41                       // 000000010668: D0CB0028 000253F3
	v_add_u32_e32 v243, 64, v243                               // 000000010670: 69E7E6C0
	s_nop 0                                                    // 000000010674: BF800000
	v_cndmask_b32_e64 v147, v69, v147, s[40:41]                // 000000010678: D1000093 00A32745
	v_cmp_le_u32_e64 s[40:41], v240, v41                       // 000000010680: D0CB0028 000253F0
	v_add_u32_e32 v240, 64, v240                               // 000000010688: 69E1E0C0
	s_nop 0                                                    // 00000001068C: BF800000
	v_cndmask_b32_e64 v148, v69, v148, s[40:41]                // 000000010690: D1000094 00A32945
	v_cmp_le_u32_e64 s[40:41], v241, v41                       // 000000010698: D0CB0028 000253F1
	v_add_u32_e32 v241, 64, v241                               // 0000000106A0: 69E3E2C0
	s_nop 0                                                    // 0000000106A4: BF800000
	v_cndmask_b32_e64 v149, v69, v149, s[40:41]                // 0000000106A8: D1000095 00A32B45
	v_cmp_le_u32_e64 s[40:41], v242, v41                       // 0000000106B0: D0CB0028 000253F2
	v_add_u32_e32 v242, 64, v242                               // 0000000106B8: 69E5E4C0
	s_nop 0                                                    // 0000000106BC: BF800000
	v_cndmask_b32_e64 v150, v69, v150, s[40:41]                // 0000000106C0: D1000096 00A32D45
	v_cmp_le_u32_e64 s[40:41], v243, v41                       // 0000000106C8: D0CB0028 000253F3
	v_add_u32_e32 v243, 64, v243                               // 0000000106D0: 69E7E6C0
	s_nop 0                                                    // 0000000106D4: BF800000
	v_cndmask_b32_e64 v151, v69, v151, s[40:41]                // 0000000106D8: D1000097 00A32F45
	v_cmp_le_u32_e64 s[40:41], v240, v41                       // 0000000106E0: D0CB0028 000253F0
	v_add_u32_e32 v240, 64, v240                               // 0000000106E8: 69E1E0C0
	s_nop 0                                                    // 0000000106EC: BF800000
	v_cndmask_b32_e64 v152, v69, v152, s[40:41]                // 0000000106F0: D1000098 00A33145
	v_cmp_le_u32_e64 s[40:41], v241, v41                       // 0000000106F8: D0CB0028 000253F1
	v_add_u32_e32 v241, 64, v241                               // 000000010700: 69E3E2C0
	s_nop 0                                                    // 000000010704: BF800000
	v_cndmask_b32_e64 v153, v69, v153, s[40:41]                // 000000010708: D1000099 00A33345
	v_cmp_le_u32_e64 s[40:41], v242, v41                       // 000000010710: D0CB0028 000253F2
	v_add_u32_e32 v242, 64, v242                               // 000000010718: 69E5E4C0
	s_nop 0                                                    // 00000001071C: BF800000
	v_cndmask_b32_e64 v154, v69, v154, s[40:41]                // 000000010720: D100009A 00A33545
	v_cmp_le_u32_e64 s[40:41], v243, v41                       // 000000010728: D0CB0028 000253F3
	v_add_u32_e32 v243, 64, v243                               // 000000010730: 69E7E6C0
	s_nop 0                                                    // 000000010734: BF800000
	v_cndmask_b32_e64 v155, v69, v155, s[40:41]                // 000000010738: D100009B 00A33745
	v_cmp_le_u32_e64 s[40:41], v240, v41                       // 000000010740: D0CB0028 000253F0
	v_add_u32_e32 v240, 64, v240                               // 000000010748: 69E1E0C0
	s_nop 0                                                    // 00000001074C: BF800000
	v_cndmask_b32_e64 v156, v69, v156, s[40:41]                // 000000010750: D100009C 00A33945
	v_cmp_le_u32_e64 s[40:41], v241, v41                       // 000000010758: D0CB0028 000253F1
	v_add_u32_e32 v241, 64, v241                               // 000000010760: 69E3E2C0
	s_nop 0                                                    // 000000010764: BF800000
	v_cndmask_b32_e64 v157, v69, v157, s[40:41]                // 000000010768: D100009D 00A33B45
	v_cmp_le_u32_e64 s[40:41], v242, v41                       // 000000010770: D0CB0028 000253F2
	v_add_u32_e32 v242, 64, v242                               // 000000010778: 69E5E4C0
	s_nop 0                                                    // 00000001077C: BF800000
	v_cndmask_b32_e64 v158, v69, v158, s[40:41]                // 000000010780: D100009E 00A33D45
	v_cmp_le_u32_e64 s[40:41], v243, v41                       // 000000010788: D0CB0028 000253F3
	v_add_u32_e32 v243, 64, v243                               // 000000010790: 69E7E6C0
	s_nop 0                                                    // 000000010794: BF800000
	v_cndmask_b32_e64 v159, v69, v159, s[40:41]                // 000000010798: D100009F 00A33F45

00000000000107a0 <label_3968>:
	s_add_u32 s90, s91, s90                                    // 0000000107A0: 805A5A5B
	v_mov_b32_e32 v62, v144                                    // 0000000107A4: 7E7C0390
	v_max3_f32 v62, v144, v145, v62                            // 0000000107A8: D1D3003E 04FB2390
	v_max3_f32 v62, v146, v147, v62                            // 0000000107B0: D1D3003E 04FB2792
	v_max3_f32 v62, v148, v149, v62                            // 0000000107B8: D1D3003E 04FB2B94
	v_max3_f32 v62, v150, v151, v62                            // 0000000107C0: D1D3003E 04FB2F96
	v_max3_f32 v62, v152, v153, v62                            // 0000000107C8: D1D3003E 04FB3398
	v_max3_f32 v62, v154, v155, v62                            // 0000000107D0: D1D3003E 04FB379A
	v_max3_f32 v62, v156, v157, v62                            // 0000000107D8: D1D3003E 04FB3B9C
	v_max3_f32 v62, v158, v159, v62                            // 0000000107E0: D1D3003E 04FB3F9E
	ds_write_b32 v11, v62 offset:16896                         // 0000000107E8: D81A4200 00003E0B
	v_mul_f32_e32 v232, v64, v232                              // 0000000107F0: 0BD1D140
	v_mul_f32_e32 v233, v64, v233                              // 0000000107F4: 0BD3D340
	v_mul_f32_e32 v234, v64, v234                              // 0000000107F8: 0BD5D540
	v_mul_f32_e32 v235, v64, v235                              // 0000000107FC: 0BD7D740
	v_mul_f32_e32 v236, v64, v236                              // 000000010800: 0BD9D940
	v_mul_f32_e32 v237, v64, v237                              // 000000010804: 0BDBDB40
	v_mul_f32_e32 v238, v64, v238                              // 000000010808: 0BDDDD40
	v_mul_f32_e32 v239, v64, v239                              // 00000001080C: 0BDFDF40
	s_waitcnt lgkmcnt(0)                                       // 000000010810: BF8CC07F
	s_barrier                                                  // 000000010814: BF8A0000
	ds_read_b32 v80, v10 offset:16896                          // 000000010818: D86C4200 5000000A
	ds_read_b32 v81, v10 offset:16960                          // 000000010820: D86C4240 5100000A
	ds_read_b32 v82, v10 offset:17024                          // 000000010828: D86C4280 5200000A
	ds_read_b32 v83, v10 offset:17088                          // 000000010830: D86C42C0 5300000A
	ds_read_b32 v84, v10 offset:17152                          // 000000010838: D86C4300 5400000A
	ds_read_b32 v85, v10 offset:17216                          // 000000010840: D86C4340 5500000A
	ds_read_b32 v86, v10 offset:17280                          // 000000010848: D86C4380 5600000A
	ds_read_b32 v87, v10 offset:17344                          // 000000010850: D86C43C0 5700000A
	ds_read_b32 v88, v10 offset:17408                          // 000000010858: D86C4400 5800000A
	ds_read_b32 v89, v10 offset:17472                          // 000000010860: D86C4440 5900000A
	ds_read_b32 v90, v10 offset:17536                          // 000000010868: D86C4480 5A00000A
	ds_read_b32 v91, v10 offset:17600                          // 000000010870: D86C44C0 5B00000A
	ds_read_b32 v92, v10 offset:17664                          // 000000010878: D86C4500 5C00000A
	ds_read_b32 v93, v10 offset:17728                          // 000000010880: D86C4540 5D00000A
	ds_read_b32 v94, v10 offset:17792                          // 000000010888: D86C4580 5E00000A
	ds_read_b32 v95, v10 offset:17856                          // 000000010890: D86C45C0 5F00000A
	v_cvt_f32_i32_e32 v200, v200                               // 000000010898: 7F900BC8
	v_cvt_f32_i32_e32 v201, v201                               // 00000001089C: 7F920BC9
	v_cvt_f32_i32_e32 v202, v202                               // 0000000108A0: 7F940BCA
	v_cvt_f32_i32_e32 v203, v203                               // 0000000108A4: 7F960BCB
	v_cvt_f32_i32_e32 v204, v204                               // 0000000108A8: 7F980BCC
	v_cvt_f32_i32_e32 v205, v205                               // 0000000108AC: 7F9A0BCD
	v_cvt_f32_i32_e32 v206, v206                               // 0000000108B0: 7F9C0BCE
	v_cvt_f32_i32_e32 v207, v207                               // 0000000108B4: 7F9E0BCF
	v_mul_f32_e32 v200, v59, v200                              // 0000000108B8: 0B91913B
	v_mul_f32_e32 v201, v59, v201                              // 0000000108BC: 0B93933B
	v_mul_f32_e32 v202, v59, v202                              // 0000000108C0: 0B95953B
	v_mul_f32_e32 v203, v59, v203                              // 0000000108C4: 0B97973B
	v_mul_f32_e32 v204, v59, v204                              // 0000000108C8: 0B99993B
	v_mul_f32_e32 v205, v59, v205                              // 0000000108CC: 0B9B9B3B
	v_mul_f32_e32 v206, v59, v206                              // 0000000108D0: 0B9D9D3B
	v_mul_f32_e32 v207, v59, v207                              // 0000000108D4: 0B9F9F3B
	s_waitcnt lgkmcnt(0)                                       // 0000000108D8: BF8CC07F
	v_max3_f32 v62, v80, v81, v62                              // 0000000108DC: D1D3003E 04FAA350
	v_max3_f32 v62, v82, v83, v62                              // 0000000108E4: D1D3003E 04FAA752
	v_max3_f32 v62, v84, v85, v62                              // 0000000108EC: D1D3003E 04FAAB54
	v_max3_f32 v62, v86, v87, v62                              // 0000000108F4: D1D3003E 04FAAF56
	v_max3_f32 v62, v88, v89, v62                              // 0000000108FC: D1D3003E 04FAB358
	v_max3_f32 v62, v90, v91, v62                              // 000000010904: D1D3003E 04FAB75A
	v_max3_f32 v62, v92, v93, v62                              // 00000001090C: D1D3003E 04FABB5C
	v_max3_f32 v62, v94, v95, v62                              // 000000010914: D1D3003E 04FABF5E
	v_mov_b32_e32 v41, 0xff800000                              // 00000001091C: 7E5202FF FF800000
	v_cmp_eq_u32_e64 s[40:41], v41, v15                        // 000000010924: D0CA0028 00021F29
	s_nop 1                                                    // 00000001092C: BF800001
	v_max_f32_e32 v18, v62, v15                                // 000000010930: 16241F3E
	v_mul_f32_e32 v67, s64, v18                                // 000000010934: 0A862440
	v_fma_f32 v144, v144, s64, -v67                            // 000000010938: D1CB0090 850C8190
	v_fma_f32 v145, v145, s64, -v67                            // 000000010940: D1CB0091 850C8191
	v_fma_f32 v146, v146, s64, -v67                            // 000000010948: D1CB0092 850C8192
	v_fma_f32 v147, v147, s64, -v67                            // 000000010950: D1CB0093 850C8193
	v_fma_f32 v148, v148, s64, -v67                            // 000000010958: D1CB0094 850C8194
	v_fma_f32 v149, v149, s64, -v67                            // 000000010960: D1CB0095 850C8195
	v_fma_f32 v150, v150, s64, -v67                            // 000000010968: D1CB0096 850C8196
	v_fma_f32 v151, v151, s64, -v67                            // 000000010970: D1CB0097 850C8197
	v_fma_f32 v152, v152, s64, -v67                            // 000000010978: D1CB0098 850C8198
	v_fma_f32 v153, v153, s64, -v67                            // 000000010980: D1CB0099 850C8199
	v_fma_f32 v154, v154, s64, -v67                            // 000000010988: D1CB009A 850C819A
	v_fma_f32 v155, v155, s64, -v67                            // 000000010990: D1CB009B 850C819B
	v_fma_f32 v156, v156, s64, -v67                            // 000000010998: D1CB009C 850C819C
	v_fma_f32 v157, v157, s64, -v67                            // 0000000109A0: D1CB009D 850C819D
	v_fma_f32 v158, v158, s64, -v67                            // 0000000109A8: D1CB009E 850C819E
	v_fma_f32 v159, v159, s64, -v67                            // 0000000109B0: D1CB009F 850C819F
	v_exp_f32_e32 v144, v144                                   // 0000000109B8: 7F204190
	v_exp_f32_e32 v145, v145                                   // 0000000109BC: 7F224191
	v_exp_f32_e32 v146, v146                                   // 0000000109C0: 7F244192
	v_exp_f32_e32 v147, v147                                   // 0000000109C4: 7F264193
	v_exp_f32_e32 v148, v148                                   // 0000000109C8: 7F284194
	v_exp_f32_e32 v149, v149                                   // 0000000109CC: 7F2A4195
	v_exp_f32_e32 v150, v150                                   // 0000000109D0: 7F2C4196
	v_exp_f32_e32 v151, v151                                   // 0000000109D4: 7F2E4197
	v_exp_f32_e32 v152, v152                                   // 0000000109D8: 7F304198
	v_exp_f32_e32 v153, v153                                   // 0000000109DC: 7F324199
	v_exp_f32_e32 v154, v154                                   // 0000000109E0: 7F34419A
	v_exp_f32_e32 v155, v155                                   // 0000000109E4: 7F36419B
	v_exp_f32_e32 v156, v156                                   // 0000000109E8: 7F38419C
	v_exp_f32_e32 v157, v157                                   // 0000000109EC: 7F3A419D
	v_exp_f32_e32 v158, v158                                   // 0000000109F0: 7F3C419E
	v_exp_f32_e32 v159, v159                                   // 0000000109F4: 7F3E419F
	v_mul_f32_dpp v240, v252, v144 quad_perm:[0,0,0,0] row_mask:0xf bank_mask:0xf// 0000000109F8: 0BE120FA FF0000FC
	v_mul_f32_dpp v241, v252, v145 quad_perm:[1,1,1,1] row_mask:0xf bank_mask:0xf// 000000010A00: 0BE322FA FF0055FC
	v_mul_f32_dpp v242, v252, v146 quad_perm:[2,2,2,2] row_mask:0xf bank_mask:0xf// 000000010A08: 0BE524FA FF00AAFC
	v_mul_f32_dpp v243, v252, v147 quad_perm:[3,3,3,3] row_mask:0xf bank_mask:0xf// 000000010A10: 0BE726FA FF00FFFC
	v_mul_f32_dpp v244, v253, v148 quad_perm:[0,0,0,0] row_mask:0xf bank_mask:0xf// 000000010A18: 0BE928FA FF0000FD
	v_mul_f32_dpp v245, v253, v149 quad_perm:[1,1,1,1] row_mask:0xf bank_mask:0xf// 000000010A20: 0BEB2AFA FF0055FD
	v_mul_f32_dpp v246, v253, v150 quad_perm:[2,2,2,2] row_mask:0xf bank_mask:0xf// 000000010A28: 0BED2CFA FF00AAFD
	v_mul_f32_dpp v247, v253, v151 quad_perm:[3,3,3,3] row_mask:0xf bank_mask:0xf// 000000010A30: 0BEF2EFA FF00FFFD
	v_mul_f32_dpp v248, v254, v152 quad_perm:[0,0,0,0] row_mask:0xf bank_mask:0xf// 000000010A38: 0BF130FA FF0000FE
	v_mul_f32_dpp v249, v254, v153 quad_perm:[1,1,1,1] row_mask:0xf bank_mask:0xf// 000000010A40: 0BF332FA FF0055FE
	v_mul_f32_dpp v250, v254, v154 quad_perm:[2,2,2,2] row_mask:0xf bank_mask:0xf// 000000010A48: 0BF534FA FF00AAFE
	v_mul_f32_dpp v251, v254, v155 quad_perm:[3,3,3,3] row_mask:0xf bank_mask:0xf// 000000010A50: 0BF736FA FF00FFFE
	v_mul_f32_dpp v252, v255, v156 quad_perm:[0,0,0,0] row_mask:0xf bank_mask:0xf// 000000010A58: 0BF938FA FF0000FF
	v_mul_f32_dpp v253, v255, v157 quad_perm:[1,1,1,1] row_mask:0xf bank_mask:0xf// 000000010A60: 0BFB3AFA FF0055FF
	v_mul_f32_dpp v254, v255, v158 quad_perm:[2,2,2,2] row_mask:0xf bank_mask:0xf// 000000010A68: 0BFD3CFA FF00AAFF
	v_mul_f32_dpp v255, v255, v159 quad_perm:[3,3,3,3] row_mask:0xf bank_mask:0xf// 000000010A70: 0BFF3EFA FF00FFFF
	v_mov_b32_e32 v62, 0x358637bd                              // 000000010A78: 7E7C02FF 358637BD
	v_max3_f32 v62, |v240|, |v241|, v62                        // 000000010A80: D1D3033E 04FBE3F0
	v_max3_f32 v62, |v242|, |v243|, v62                        // 000000010A88: D1D3033E 04FBE7F2
	v_max3_f32 v62, |v244|, |v245|, v62                        // 000000010A90: D1D3033E 04FBEBF4
	v_max3_f32 v62, |v246|, |v247|, v62                        // 000000010A98: D1D3033E 04FBEFF6
	v_max3_f32 v62, |v248|, |v249|, v62                        // 000000010AA0: D1D3033E 04FBF3F8
	v_max3_f32 v62, |v250|, |v251|, v62                        // 000000010AA8: D1D3033E 04FBF7FA
	v_max3_f32 v62, |v252|, |v253|, v62                        // 000000010AB0: D1D3033E 04FBFBFC
	v_max3_f32 v62, |v254|, |v255|, v62                        // 000000010AB8: D1D3033E 04FBFFFE
	ds_write_b32 v11, v62 offset:20992                         // 000000010AC0: D81A5200 00003E0B
	v_sub_f32_e32 v64, v15, v18                                // 000000010AC8: 0480250F
	v_cndmask_b32_e64 v64, v64, 0, s[40:41]                    // 000000010ACC: D1000040 00A10140
	v_mov_b32_e32 v15, v18                                     // 000000010AD4: 7E1E0312
	v_mul_f32_e32 v64, s64, v64                                // 000000010AD8: 0A808040
	v_exp_f32_e32 v64, v64                                     // 000000010ADC: 7E804140
	s_waitcnt lgkmcnt(0)                                       // 000000010AE0: BF8CC07F
	s_barrier                                                  // 000000010AE4: BF8A0000
	ds_read_b32 v80, v10 offset:20992                          // 000000010AE8: D86C5200 5000000A
	ds_read_b32 v81, v10 offset:21056                          // 000000010AF0: D86C5240 5100000A
	ds_read_b32 v82, v10 offset:21120                          // 000000010AF8: D86C5280 5200000A
	ds_read_b32 v83, v10 offset:21184                          // 000000010B00: D86C52C0 5300000A
	ds_read_b32 v84, v10 offset:21248                          // 000000010B08: D86C5300 5400000A
	ds_read_b32 v85, v10 offset:21312                          // 000000010B10: D86C5340 5500000A
	ds_read_b32 v86, v10 offset:21376                          // 000000010B18: D86C5380 5600000A
	ds_read_b32 v87, v10 offset:21440                          // 000000010B20: D86C53C0 5700000A
	ds_read_b32 v88, v10 offset:21504                          // 000000010B28: D86C5400 5800000A
	ds_read_b32 v89, v10 offset:21568                          // 000000010B30: D86C5440 5900000A
	ds_read_b32 v90, v10 offset:21632                          // 000000010B38: D86C5480 5A00000A
	ds_read_b32 v91, v10 offset:21696                          // 000000010B40: D86C54C0 5B00000A
	ds_read_b32 v92, v10 offset:21760                          // 000000010B48: D86C5500 5C00000A
	ds_read_b32 v93, v10 offset:21824                          // 000000010B50: D86C5540 5D00000A
	ds_read_b32 v94, v10 offset:21888                          // 000000010B58: D86C5580 5E00000A
	ds_read_b32 v95, v10 offset:21952                          // 000000010B60: D86C55C0 5F00000A
	v_mul_f32_e32 v48, v64, v48                                // 000000010B68: 0A606140
	v_mov_b32_e32 v18, v144                                    // 000000010B6C: 7E240390
	v_add_f32_e32 v18, v145, v18                               // 000000010B70: 02242591
	v_add_f32_e32 v18, v146, v18                               // 000000010B74: 02242592
	v_add_f32_e32 v18, v147, v18                               // 000000010B78: 02242593
	v_add_f32_e32 v18, v148, v18                               // 000000010B7C: 02242594
	v_add_f32_e32 v18, v149, v18                               // 000000010B80: 02242595
	v_add_f32_e32 v18, v150, v18                               // 000000010B84: 02242596
	v_add_f32_e32 v18, v151, v18                               // 000000010B88: 02242597
	v_add_f32_e32 v18, v152, v18                               // 000000010B8C: 02242598
	v_add_f32_e32 v18, v153, v18                               // 000000010B90: 02242599
	v_add_f32_e32 v18, v154, v18                               // 000000010B94: 0224259A
	v_add_f32_e32 v18, v155, v18                               // 000000010B98: 0224259B
	v_add_f32_e32 v18, v156, v18                               // 000000010B9C: 0224259C
	v_add_f32_e32 v18, v157, v18                               // 000000010BA0: 0224259D
	v_add_f32_e32 v18, v158, v18                               // 000000010BA4: 0224259E
	v_add_f32_e32 v18, v159, v18                               // 000000010BA8: 0224259F
	v_add_f32_e32 v48, v18, v48                                // 000000010BAC: 02606112
	s_waitcnt lgkmcnt(0)                                       // 000000010BB0: BF8CC07F
	v_max3_f32 v62, |v80|, |v81|, v62                          // 000000010BB4: D1D3033E 04FAA350
	v_max3_f32 v62, |v82|, |v83|, v62                          // 000000010BBC: D1D3033E 04FAA752
	v_max3_f32 v62, |v84|, |v85|, v62                          // 000000010BC4: D1D3033E 04FAAB54
	v_max3_f32 v62, |v86|, |v87|, v62                          // 000000010BCC: D1D3033E 04FAAF56
	v_max3_f32 v62, |v88|, |v89|, v62                          // 000000010BD4: D1D3033E 04FAB358
	v_max3_f32 v62, |v90|, |v91|, v62                          // 000000010BDC: D1D3033E 04FAB75A
	v_max3_f32 v62, |v92|, |v93|, v62                          // 000000010BE4: D1D3033E 04FABB5C
	v_max3_f32 v62, |v94|, |v95|, v62                          // 000000010BEC: D1D3033E 04FABF5E
	s_nop 2                                                    // 000000010BF4: BF800002
	v_rcp_f32_e32 v62, v62                                     // 000000010BF8: 7E7C453E
	s_nop 1                                                    // 000000010BFC: BF800001
	v_mul_f32_e32 v62, 0x42fe0000, v62                         // 000000010C00: 0A7C7CFF 42FE0000
	v_mul_f32_e32 v144, v62, v240                              // 000000010C08: 0B21E13E
	v_mul_f32_e32 v145, v62, v241                              // 000000010C0C: 0B23E33E
	v_mul_f32_e32 v146, v62, v242                              // 000000010C10: 0B25E53E
	v_mul_f32_e32 v147, v62, v243                              // 000000010C14: 0B27E73E
	v_mul_f32_e32 v148, v62, v244                              // 000000010C18: 0B29E93E
	v_mul_f32_e32 v149, v62, v245                              // 000000010C1C: 0B2BEB3E
	v_mul_f32_e32 v150, v62, v246                              // 000000010C20: 0B2DED3E
	v_mul_f32_e32 v151, v62, v247                              // 000000010C24: 0B2FEF3E
	v_mul_f32_e32 v152, v62, v248                              // 000000010C28: 0B31F13E
	v_mul_f32_e32 v153, v62, v249                              // 000000010C2C: 0B33F33E
	v_mul_f32_e32 v154, v62, v250                              // 000000010C30: 0B35F53E
	v_mul_f32_e32 v155, v62, v251                              // 000000010C34: 0B37F73E
	v_mul_f32_e32 v156, v62, v252                              // 000000010C38: 0B39F93E
	v_mul_f32_e32 v157, v62, v253                              // 000000010C3C: 0B3BFB3E
	v_mul_f32_e32 v158, v62, v254                              // 000000010C40: 0B3DFD3E
	v_mul_f32_e32 v159, v62, v255                              // 000000010C44: 0B3FFF3E
	v_cvt_i32_f32_e32 v144, v144                               // 000000010C48: 7F201190
	v_cvt_i32_f32_e32 v145, v145                               // 000000010C4C: 7F221191
	v_cvt_i32_f32_e32 v146, v146                               // 000000010C50: 7F241192
	v_cvt_i32_f32_e32 v147, v147                               // 000000010C54: 7F261193
	v_cvt_i32_f32_e32 v148, v148                               // 000000010C58: 7F281194
	v_cvt_i32_f32_e32 v149, v149                               // 000000010C5C: 7F2A1195
	v_cvt_i32_f32_e32 v150, v150                               // 000000010C60: 7F2C1196
	v_cvt_i32_f32_e32 v151, v151                               // 000000010C64: 7F2E1197
	v_cvt_i32_f32_e32 v152, v152                               // 000000010C68: 7F301198
	v_cvt_i32_f32_e32 v153, v153                               // 000000010C6C: 7F321199
	v_cvt_i32_f32_e32 v154, v154                               // 000000010C70: 7F34119A
	v_cvt_i32_f32_e32 v155, v155                               // 000000010C74: 7F36119B
	v_cvt_i32_f32_e32 v156, v156                               // 000000010C78: 7F38119C
	v_cvt_i32_f32_e32 v157, v157                               // 000000010C7C: 7F3A119D
	v_cvt_i32_f32_e32 v158, v158                               // 000000010C80: 7F3C119E
	v_cvt_i32_f32_e32 v159, v159                               // 000000010C84: 7F3E119F
	v_perm_b32 v144, v145, v144, s53                           // 000000010C88: D1ED0090 00D72191
	v_perm_b32 v144, v146, v144, s54                           // 000000010C90: D1ED0090 00DB2192
	v_perm_b32 v144, v147, v144, s55                           // 000000010C98: D1ED0090 00DF2193
	v_perm_b32 v145, v149, v148, s53                           // 000000010CA0: D1ED0091 00D72995
	v_perm_b32 v145, v150, v145, s54                           // 000000010CA8: D1ED0091 00DB2396
	v_perm_b32 v145, v151, v145, s55                           // 000000010CB0: D1ED0091 00DF2397
	v_perm_b32 v146, v153, v152, s53                           // 000000010CB8: D1ED0092 00D73199
	v_perm_b32 v146, v154, v146, s54                           // 000000010CC0: D1ED0092 00DB259A
	v_perm_b32 v146, v155, v146, s55                           // 000000010CC8: D1ED0092 00DF259B
	v_perm_b32 v147, v157, v156, s53                           // 000000010CD0: D1ED0093 00D7399D
	v_perm_b32 v147, v158, v147, s54                           // 000000010CD8: D1ED0093 00DB279E
	v_perm_b32 v147, v159, v147, s55                           // 000000010CE0: D1ED0093 00DF279F
	ds_write_b32 v13, v144 offset:29184                        // 000000010CE8: D81A7200 0000900D
	ds_write_b32 v13, v145 offset:30208                        // 000000010CF0: D81A7600 0000910D
	ds_write_b32 v13, v146 offset:31232                        // 000000010CF8: D81A7A00 0000920D
	ds_write_b32 v13, v147 offset:32256                        // 000000010D00: D81A7E00 0000930D
	v_add_f32_e32 v232, v232, v200                             // 000000010D08: 03D191E8
	v_add_f32_e32 v233, v233, v201                             // 000000010D0C: 03D393E9
	v_add_f32_e32 v234, v234, v202                             // 000000010D10: 03D595EA
	v_add_f32_e32 v235, v235, v203                             // 000000010D14: 03D797EB
	v_add_f32_e32 v236, v236, v204                             // 000000010D18: 03D999EC
	v_add_f32_e32 v237, v237, v205                             // 000000010D1C: 03DB9BED
	v_add_f32_e32 v238, v238, v206                             // 000000010D20: 03DD9DEE
	v_add_f32_e32 v239, v239, v207                             // 000000010D24: 03DF9FEF
	v_rcp_f32_e32 v59, v62                                     // 000000010D28: 7E76453E
	s_waitcnt lgkmcnt(0)                                       // 000000010D2C: BF8CC07F
	s_barrier                                                  // 000000010D30: BF8A0000
	ds_read_b64 v[144:145], v12 offset:29184                   // 000000010D34: D8EC7200 9000000C
	ds_read_b64 v[146:147], v12 offset:29312                   // 000000010D3C: D8EC7280 9200000C
	ds_read_b64 v[148:149], v12 offset:30208                   // 000000010D44: D8EC7600 9400000C
	ds_read_b64 v[150:151], v12 offset:30336                   // 000000010D4C: D8EC7680 9600000C
	ds_read_b64 v[152:153], v12 offset:31232                   // 000000010D54: D8EC7A00 9800000C
	ds_read_b64 v[154:155], v12 offset:31360                   // 000000010D5C: D8EC7A80 9A00000C
	ds_read_b64 v[156:157], v12 offset:32256                   // 000000010D64: D8EC7E00 9C00000C
	ds_read_b64 v[158:159], v12 offset:32384                   // 000000010D6C: D8EC7E80 9E00000C
	s_waitcnt vmcnt(15)                                        // 000000010D74: BF8C0F7F
	v_mfma_i32_16x16x32_i8 v[192:195], a[96:97], v[128:129], 0 // 000000010D78: D3D700C0 0A030160
	buffer_load_dwordx4 a[80:83], v33, s[20:23], 0 offen offset:1024// 000000010D80: E05C1400 80855021
	v_mfma_i32_16x16x32_i8 v[192:195], a[98:99], v[130:131], v[192:195]// 000000010D88: D3D700C0 0F030562
	v_mfma_i32_16x16x32_i8 v[192:195], a[100:101], v[132:133], v[192:195]// 000000010D90: D3D700C0 0F030964
	v_mfma_i32_16x16x32_i8 v[192:195], a[102:103], v[134:135], v[192:195]// 000000010D98: D3D700C0 0F030D66
	v_mfma_i32_16x16x32_i8 v[192:195], a[104:105], v[136:137], v[192:195]// 000000010DA0: D3D700C0 0F031168
	buffer_load_dwordx4 a[84:87], v34, s[20:23], 0 offen offset:1024// 000000010DA8: E05C1400 80855422
	v_mfma_i32_16x16x32_i8 v[192:195], a[106:107], v[138:139], v[192:195]// 000000010DB0: D3D700C0 0F03156A
	v_mfma_i32_16x16x32_i8 v[192:195], a[108:109], v[140:141], v[192:195]// 000000010DB8: D3D700C0 0F03196C
	v_mfma_i32_16x16x32_i8 v[192:195], a[110:111], v[142:143], v[192:195]// 000000010DC0: D3D700C0 0F031D6E
	v_mfma_i32_16x16x32_i8 v[196:199], a[112:113], v[128:129], 0// 000000010DC8: D3D700C4 0A030170
	buffer_load_dwordx4 a[88:91], v35, s[20:23], 0 offen offset:1024// 000000010DD0: E05C1400 80855823
	v_mfma_i32_16x16x32_i8 v[196:199], a[114:115], v[130:131], v[196:199]// 000000010DD8: D3D700C4 0F130572
	v_mfma_i32_16x16x32_i8 v[196:199], a[116:117], v[132:133], v[196:199]// 000000010DE0: D3D700C4 0F130974
	v_mfma_i32_16x16x32_i8 v[196:199], a[118:119], v[134:135], v[196:199]// 000000010DE8: D3D700C4 0F130D76
	v_mfma_i32_16x16x32_i8 v[196:199], a[120:121], v[136:137], v[196:199]// 000000010DF0: D3D700C4 0F131178
	buffer_load_dwordx4 a[92:95], v36, s[20:23], 0 offen offset:1024// 000000010DF8: E05C1400 80855C24
	v_mfma_i32_16x16x32_i8 v[196:199], a[122:123], v[138:139], v[196:199]// 000000010E00: D3D700C4 0F13157A
	v_mfma_i32_16x16x32_i8 v[196:199], a[124:125], v[140:141], v[196:199]// 000000010E08: D3D700C4 0F13197C
	s_lshr_b32 s57, s70, 4                                     // 000000010E10: 8F398446
	s_add_u32 s57, 48, s57                                     // 000000010E14: 803939B0
	v_mfma_i32_16x16x32_i8 v[196:199], a[126:127], v[142:143], v[196:199]// 000000010E18: D3D700C4 0F131D7E
	s_cmp_ge_u32 s57, s73                                      // 000000010E20: BF094939
	s_cselect_b32 s56, 0, s56                                  // 000000010E24: 85383880
	v_mfma_i32_16x16x32_i8 v[200:203], a[96:97], v[144:145], 0 // 000000010E28: D3D700C8 0A032160
	v_mfma_i32_16x16x32_i8 v[200:203], a[98:99], v[146:147], v[200:203]// 000000010E30: D3D700C8 0F232562
	v_mfma_i32_16x16x32_i8 v[200:203], a[100:101], v[148:149], v[200:203]// 000000010E38: D3D700C8 0F232964
	v_mfma_i32_16x16x32_i8 v[200:203], a[102:103], v[150:151], v[200:203]// 000000010E40: D3D700C8 0F232D66
	v_mfma_i32_16x16x32_i8 v[200:203], a[104:105], v[152:153], v[200:203]// 000000010E48: D3D700C8 0F233168
	v_mfma_i32_16x16x32_i8 v[200:203], a[106:107], v[154:155], v[200:203]// 000000010E50: D3D700C8 0F23356A
	v_mfma_i32_16x16x32_i8 v[200:203], a[108:109], v[156:157], v[200:203]// 000000010E58: D3D700C8 0F23396C
	v_mfma_i32_16x16x32_i8 v[200:203], a[110:111], v[158:159], v[200:203]// 000000010E60: D3D700C8 0F233D6E
	v_mfma_i32_16x16x32_i8 v[204:207], a[112:113], v[144:145], 0// 000000010E68: D3D700CC 0A032170
	v_mfma_i32_16x16x32_i8 v[204:207], a[114:115], v[146:147], v[204:207]// 000000010E70: D3D700CC 0F332572
	v_mfma_i32_16x16x32_i8 v[204:207], a[116:117], v[148:149], v[204:207]// 000000010E78: D3D700CC 0F332974
	v_mfma_i32_16x16x32_i8 v[204:207], a[118:119], v[150:151], v[204:207]// 000000010E80: D3D700CC 0F332D76
	v_mfma_i32_16x16x32_i8 v[204:207], a[120:121], v[152:153], v[204:207]// 000000010E88: D3D700CC 0F333178
	v_mfma_i32_16x16x32_i8 v[204:207], a[122:123], v[154:155], v[204:207]// 000000010E90: D3D700CC 0F33357A
	v_mfma_i32_16x16x32_i8 v[204:207], a[124:125], v[156:157], v[204:207]// 000000010E98: D3D700CC 0F33397C
	v_mfma_i32_16x16x32_i8 v[204:207], a[126:127], v[158:159], v[204:207]// 000000010EA0: D3D700CC 0F333D7E
	v_add_u32_e32 v1, s56, v1                                  // 000000010EA8: 68020238
	s_addk_i32 s70, 0x100                                      // 000000010EAC: B7460100
	s_cmp_lt_i32 s70, s71                                      // 000000010EB0: BF044746
	s_cbranch_scc0 label_3019                                  // 000000010EB4: BF84F4EB
	s_branch label_301C                                        // 000000010EB8: BF82F4ED

0000000000010ebc <label_3B2F>:
	s_lshr_b32 s60, s71, 4                                     // 000000010EBC: 8F3C8447
	s_cmp_eq_i32 s60, s73                                      // 000000010EC0: BF00493C
	s_cbranch_scc1 label_4780                                  // 000000010EC4: BF850C4E
	s_lshr_b32 s60, s71, 8                                     // 000000010EC8: 8F3C8847
	s_and_b32 s60, s60, 1                                      // 000000010ECC: 863C813C
	s_cmp_eq_i32 s60, 1                                        // 000000010ED0: BF00813C
	s_cbranch_scc1 label_415B                                  // 000000010ED4: BF850625
	s_waitcnt vmcnt(8) lgkmcnt(0)                              // 000000010ED8: BF8C0078
	s_barrier                                                  // 000000010EDC: BF8A0000
	v_mfma_i32_16x16x32_i8 v[128:131], a[0:1], v[96:97], 0     // 000000010EE0: D3D70080 0A02C100
	v_mfma_i32_16x16x32_i8 v[128:131], a[2:3], v[98:99], v[128:131]// 000000010EE8: D3D70080 0E02C502
	v_mfma_i32_16x16x32_i8 v[128:131], a[4:5], v[100:101], v[128:131]// 000000010EF0: D3D70080 0E02C904
	v_mfma_i32_16x16x32_i8 v[128:131], a[6:7], v[102:103], v[128:131]// 000000010EF8: D3D70080 0E02CD06
	v_mfma_i32_16x16x32_i8 v[132:135], a[8:9], v[96:97], 0     // 000000010F00: D3D70084 0A02C108
	v_mfma_i32_16x16x32_i8 v[132:135], a[10:11], v[98:99], v[132:135]// 000000010F08: D3D70084 0E12C50A
	v_mfma_i32_16x16x32_i8 v[132:135], a[12:13], v[100:101], v[132:135]// 000000010F10: D3D70084 0E12C90C
	v_mfma_i32_16x16x32_i8 v[132:135], a[14:15], v[102:103], v[132:135]// 000000010F18: D3D70084 0E12CD0E
	v_mfma_i32_16x16x32_i8 v[136:139], a[16:17], v[96:97], 0   // 000000010F20: D3D70088 0A02C110
	v_mfma_i32_16x16x32_i8 v[136:139], a[18:19], v[98:99], v[136:139]// 000000010F28: D3D70088 0E22C512
	v_mfma_i32_16x16x32_i8 v[136:139], a[20:21], v[100:101], v[136:139]// 000000010F30: D3D70088 0E22C914
	v_mfma_i32_16x16x32_i8 v[136:139], a[22:23], v[102:103], v[136:139]// 000000010F38: D3D70088 0E22CD16
	v_mfma_i32_16x16x32_i8 v[140:143], a[24:25], v[96:97], 0   // 000000010F40: D3D7008C 0A02C118
	v_mfma_i32_16x16x32_i8 v[140:143], a[26:27], v[98:99], v[140:143]// 000000010F48: D3D7008C 0E32C51A
	v_mfma_i32_16x16x32_i8 v[140:143], a[28:29], v[100:101], v[140:143]// 000000010F50: D3D7008C 0E32C91C
	v_mfma_i32_16x16x32_i8 v[140:143], a[30:31], v[102:103], v[140:143]// 000000010F58: D3D7008C 0E32CD1E
	v_mfma_i32_16x16x32_i8 v[144:147], a[0:1], v[104:105], 0   // 000000010F60: D3D70090 0A02D100
	v_mfma_i32_16x16x32_i8 v[144:147], a[2:3], v[106:107], v[144:147]// 000000010F68: D3D70090 0E42D502
	v_mfma_i32_16x16x32_i8 v[144:147], a[4:5], v[108:109], v[144:147]// 000000010F70: D3D70090 0E42D904
	v_mfma_i32_16x16x32_i8 v[144:147], a[6:7], v[110:111], v[144:147]// 000000010F78: D3D70090 0E42DD06
	v_mfma_i32_16x16x32_i8 v[148:151], a[8:9], v[104:105], 0   // 000000010F80: D3D70094 0A02D108
	v_mfma_i32_16x16x32_i8 v[148:151], a[10:11], v[106:107], v[148:151]// 000000010F88: D3D70094 0E52D50A
	v_mfma_i32_16x16x32_i8 v[148:151], a[12:13], v[108:109], v[148:151]// 000000010F90: D3D70094 0E52D90C
	v_mfma_i32_16x16x32_i8 v[148:151], a[14:15], v[110:111], v[148:151]// 000000010F98: D3D70094 0E52DD0E
	v_mfma_i32_16x16x32_i8 v[152:155], a[16:17], v[104:105], 0 // 000000010FA0: D3D70098 0A02D110
	v_mfma_i32_16x16x32_i8 v[152:155], a[18:19], v[106:107], v[152:155]// 000000010FA8: D3D70098 0E62D512
	v_mfma_i32_16x16x32_i8 v[152:155], a[20:21], v[108:109], v[152:155]// 000000010FB0: D3D70098 0E62D914
	v_mfma_i32_16x16x32_i8 v[152:155], a[22:23], v[110:111], v[152:155]// 000000010FB8: D3D70098 0E62DD16
	v_mfma_i32_16x16x32_i8 v[156:159], a[24:25], v[104:105], 0 // 000000010FC0: D3D7009C 0A02D118
	v_mfma_i32_16x16x32_i8 v[156:159], a[26:27], v[106:107], v[156:159]// 000000010FC8: D3D7009C 0E72D51A
	v_mfma_i32_16x16x32_i8 v[156:159], a[28:29], v[108:109], v[156:159]// 000000010FD0: D3D7009C 0E72D91C
	v_mfma_i32_16x16x32_i8 v[156:159], a[30:31], v[110:111], v[156:159]// 000000010FD8: D3D7009C 0E72DD1E
	v_mov_b32_dpp v41, v52 row_shr:4 row_mask:0xf bank_mask:0xf// 000000010FE0: 7E5202FA FF011434
	v_mov_b32_dpp v42, v52 row_shl:4 row_mask:0xf bank_mask:0xf// 000000010FE8: 7E5402FA FF010434
	v_cndmask_b32_e64 v248, v52, v41, s[44:45]                 // 000000010FF0: D10000F8 00B25334
	v_cndmask_b32_e64 v249, v42, v52, s[44:45]                 // 000000010FF8: D10000F9 00B2692A
	v_mov_b32_dpp v41, v248 row_shr:8 row_mask:0xf bank_mask:0xf// 000000011000: 7E5202FA FF0118F8
	v_mov_b32_dpp v42, v248 row_shl:8 row_mask:0xf bank_mask:0xf// 000000011008: 7E5402FA FF0108F8
	v_mov_b32_dpp v43, v249 row_shr:8 row_mask:0xf bank_mask:0xf// 000000011010: 7E5602FA FF0118F9
	v_mov_b32_dpp v44, v249 row_shl:8 row_mask:0xf bank_mask:0xf// 000000011018: 7E5802FA FF0108F9
	v_mov_b32_e32 v45, v248                                    // 000000011020: 7E5A03F8
	v_mov_b32_e32 v46, v249                                    // 000000011024: 7E5C03F9
	v_cndmask_b32_e64 v248, v45, v41, s[42:43]                 // 000000011028: D10000F8 00AA532D
	v_cndmask_b32_e64 v250, v45, v42, s[78:79]                 // 000000011030: D10000FA 013A552D
	v_cndmask_b32_e64 v249, v46, v43, s[42:43]                 // 000000011038: D10000F9 00AA572E
	v_cndmask_b32_e64 v251, v46, v44, s[78:79]                 // 000000011040: D10000FB 013A592E
	v_mov_b32_dpp v41, v72 row_shr:4 row_mask:0xf bank_mask:0xf// 000000011048: 7E5202FA FF011448
	v_mov_b32_dpp v42, v72 row_shl:4 row_mask:0xf bank_mask:0xf// 000000011050: 7E5402FA FF010448
	v_cndmask_b32_e64 v252, v72, v41, s[44:45]                 // 000000011058: D10000FC 00B25348
	v_cndmask_b32_e64 v253, v42, v72, s[44:45]                 // 000000011060: D10000FD 00B2912A
	v_mov_b32_dpp v41, v252 row_shr:8 row_mask:0xf bank_mask:0xf// 000000011068: 7E5202FA FF0118FC
	v_mov_b32_dpp v42, v252 row_shl:8 row_mask:0xf bank_mask:0xf// 000000011070: 7E5402FA FF0108FC
	v_mov_b32_dpp v43, v253 row_shr:8 row_mask:0xf bank_mask:0xf// 000000011078: 7E5602FA FF0118FD
	v_mov_b32_dpp v44, v253 row_shl:8 row_mask:0xf bank_mask:0xf// 000000011080: 7E5802FA FF0108FD
	v_mov_b32_e32 v45, v252                                    // 000000011088: 7E5A03FC
	v_mov_b32_e32 v46, v253                                    // 00000001108C: 7E5C03FD
	v_cndmask_b32_e64 v252, v45, v41, s[42:43]                 // 000000011090: D10000FC 00AA532D
	v_cndmask_b32_e64 v254, v45, v42, s[78:79]                 // 000000011098: D10000FE 013A552D
	v_cndmask_b32_e64 v253, v46, v43, s[42:43]                 // 0000000110A0: D10000FD 00AA572E
	v_cndmask_b32_e64 v255, v46, v44, s[78:79]                 // 0000000110A8: D10000FF 013A592E
	v_cvt_f32_i32_e32 v128, v128                               // 0000000110B0: 7F000B80
	v_cvt_f32_i32_e32 v129, v129                               // 0000000110B4: 7F020B81
	v_cvt_f32_i32_e32 v130, v130                               // 0000000110B8: 7F040B82
	v_cvt_f32_i32_e32 v131, v131                               // 0000000110BC: 7F060B83
	v_cvt_f32_i32_e32 v132, v132                               // 0000000110C0: 7F080B84
	v_cvt_f32_i32_e32 v133, v133                               // 0000000110C4: 7F0A0B85
	v_cvt_f32_i32_e32 v134, v134                               // 0000000110C8: 7F0C0B86
	v_cvt_f32_i32_e32 v135, v135                               // 0000000110CC: 7F0E0B87
	v_cvt_f32_i32_e32 v136, v136                               // 0000000110D0: 7F100B88
	v_cvt_f32_i32_e32 v137, v137                               // 0000000110D4: 7F120B89
	v_cvt_f32_i32_e32 v138, v138                               // 0000000110D8: 7F140B8A
	v_cvt_f32_i32_e32 v139, v139                               // 0000000110DC: 7F160B8B
	v_cvt_f32_i32_e32 v140, v140                               // 0000000110E0: 7F180B8C
	v_cvt_f32_i32_e32 v141, v141                               // 0000000110E4: 7F1A0B8D
	v_cvt_f32_i32_e32 v142, v142                               // 0000000110E8: 7F1C0B8E
	v_cvt_f32_i32_e32 v143, v143                               // 0000000110EC: 7F1E0B8F
	v_mul_f32_e32 v128, v54, v128                              // 0000000110F0: 0B010136
	v_mul_f32_e32 v129, v54, v129                              // 0000000110F4: 0B030336
	v_mul_f32_e32 v130, v54, v130                              // 0000000110F8: 0B050536
	v_mul_f32_e32 v131, v54, v131                              // 0000000110FC: 0B070736
	v_mul_f32_e32 v132, v54, v132                              // 000000011100: 0B090936
	v_mul_f32_e32 v133, v54, v133                              // 000000011104: 0B0B0B36
	v_mul_f32_e32 v134, v54, v134                              // 000000011108: 0B0D0D36
	v_mul_f32_e32 v135, v54, v135                              // 00000001110C: 0B0F0F36
	v_mul_f32_e32 v136, v54, v136                              // 000000011110: 0B111136
	v_mul_f32_e32 v137, v54, v137                              // 000000011114: 0B131336
	v_mul_f32_e32 v138, v54, v138                              // 000000011118: 0B151536
	v_mul_f32_e32 v139, v54, v139                              // 00000001111C: 0B171736
	v_mul_f32_e32 v140, v54, v140                              // 000000011120: 0B191936
	v_mul_f32_e32 v141, v54, v141                              // 000000011124: 0B1B1B36
	v_mul_f32_e32 v142, v54, v142                              // 000000011128: 0B1D1D36
	v_mul_f32_e32 v143, v54, v143                              // 00000001112C: 0B1F1F36
	v_mul_f32_dpp v128, v248, v128 quad_perm:[0,0,0,0] row_mask:0xf bank_mask:0xf// 000000011130: 0B0100FA FF0000F8
	v_mul_f32_dpp v129, v248, v129 quad_perm:[1,1,1,1] row_mask:0xf bank_mask:0xf// 000000011138: 0B0302FA FF0055F8
	v_mul_f32_dpp v130, v248, v130 quad_perm:[2,2,2,2] row_mask:0xf bank_mask:0xf// 000000011140: 0B0504FA FF00AAF8
	v_mul_f32_dpp v131, v248, v131 quad_perm:[3,3,3,3] row_mask:0xf bank_mask:0xf// 000000011148: 0B0706FA FF00FFF8
	v_mul_f32_dpp v132, v249, v132 quad_perm:[0,0,0,0] row_mask:0xf bank_mask:0xf// 000000011150: 0B0908FA FF0000F9
	v_mul_f32_dpp v133, v249, v133 quad_perm:[1,1,1,1] row_mask:0xf bank_mask:0xf// 000000011158: 0B0B0AFA FF0055F9
	v_mul_f32_dpp v134, v249, v134 quad_perm:[2,2,2,2] row_mask:0xf bank_mask:0xf// 000000011160: 0B0D0CFA FF00AAF9
	v_mul_f32_dpp v135, v249, v135 quad_perm:[3,3,3,3] row_mask:0xf bank_mask:0xf// 000000011168: 0B0F0EFA FF00FFF9
	v_mul_f32_dpp v136, v250, v136 quad_perm:[0,0,0,0] row_mask:0xf bank_mask:0xf// 000000011170: 0B1110FA FF0000FA
	v_mul_f32_dpp v137, v250, v137 quad_perm:[1,1,1,1] row_mask:0xf bank_mask:0xf// 000000011178: 0B1312FA FF0055FA
	v_mul_f32_dpp v138, v250, v138 quad_perm:[2,2,2,2] row_mask:0xf bank_mask:0xf// 000000011180: 0B1514FA FF00AAFA
	v_mul_f32_dpp v139, v250, v139 quad_perm:[3,3,3,3] row_mask:0xf bank_mask:0xf// 000000011188: 0B1716FA FF00FFFA
	v_mul_f32_dpp v140, v251, v140 quad_perm:[0,0,0,0] row_mask:0xf bank_mask:0xf// 000000011190: 0B1918FA FF0000FB
	v_mul_f32_dpp v141, v251, v141 quad_perm:[1,1,1,1] row_mask:0xf bank_mask:0xf// 000000011198: 0B1B1AFA FF0055FB
	v_mul_f32_dpp v142, v251, v142 quad_perm:[2,2,2,2] row_mask:0xf bank_mask:0xf// 0000000111A0: 0B1D1CFA FF00AAFB
	v_mul_f32_dpp v143, v251, v143 quad_perm:[3,3,3,3] row_mask:0xf bank_mask:0xf// 0000000111A8: 0B1F1EFA FF00FFFB
	s_cmp_le_i32 s90, s89                                      // 0000000111B0: BF05595A
	s_cbranch_scc1 label_3C61                                  // 0000000111B4: BF850073
	v_mov_b32_e32 v69, 0xff800000                              // 0000000111B8: 7E8A02FF FF800000
	s_mov_b32 s60, s90                                         // 0000000111C0: BEBC005A
	s_add_u32 s61, s89, 0xff                                   // 0000000111C4: 803DFF59 000000FF
	v_mov_b32_e32 v41, s61                                     // 0000000111CC: 7E52023D
	v_lshrrev_b32_e32 v240, 4, v0                              // 0000000111D0: 21E00084
	v_mul_i32_i24_e32 v240, 4, v240                            // 0000000111D4: 0DE1E084
	v_add_u32_e32 v240, s60, v240                              // 0000000111D8: 69E1E03C
	v_and_b32_e32 v42, 15, v0                                  // 0000000111DC: 2654008F
	v_lshrrev_b32_e32 v42, 3, v42                              // 0000000111E0: 20545483
	s_mov_b32 s61, 0                                           // 0000000111E4: BEBD0080
	s_mul_i32 s60, 16, s7                                      // 0000000111E8: 923C0790
	v_add_u32_e32 v42, s61, v42                                // 0000000111EC: 6854543D
	v_sub_u32_e32 v240, v240, v42                              // 0000000111F0: 6BE055F0
	v_add_u32_e32 v240, s60, v240                              // 0000000111F4: 69E1E03C
	v_add_u32_e32 v241, 1, v240                                // 0000000111F8: 69E3E081
	v_add_u32_e32 v242, 2, v240                                // 0000000111FC: 69E5E082
	v_add_u32_e32 v243, 3, v240                                // 000000011200: 69E7E083
	v_cmp_le_u32_e64 s[40:41], v240, v41                       // 000000011204: D0CB0028 000253F0
	v_add_u32_e32 v240, 64, v240                               // 00000001120C: 69E1E0C0
	s_nop 0                                                    // 000000011210: BF800000
	v_cndmask_b32_e64 v128, v69, v128, s[40:41]                // 000000011214: D1000080 00A30145
	v_cmp_le_u32_e64 s[40:41], v241, v41                       // 00000001121C: D0CB0028 000253F1
	v_add_u32_e32 v241, 64, v241                               // 000000011224: 69E3E2C0
	s_nop 0                                                    // 000000011228: BF800000
	v_cndmask_b32_e64 v129, v69, v129, s[40:41]                // 00000001122C: D1000081 00A30345
	v_cmp_le_u32_e64 s[40:41], v242, v41                       // 000000011234: D0CB0028 000253F2
	v_add_u32_e32 v242, 64, v242                               // 00000001123C: 69E5E4C0
	s_nop 0                                                    // 000000011240: BF800000
	v_cndmask_b32_e64 v130, v69, v130, s[40:41]                // 000000011244: D1000082 00A30545
	v_cmp_le_u32_e64 s[40:41], v243, v41                       // 00000001124C: D0CB0028 000253F3
	v_add_u32_e32 v243, 64, v243                               // 000000011254: 69E7E6C0
	s_nop 0                                                    // 000000011258: BF800000
	v_cndmask_b32_e64 v131, v69, v131, s[40:41]                // 00000001125C: D1000083 00A30745
	v_cmp_le_u32_e64 s[40:41], v240, v41                       // 000000011264: D0CB0028 000253F0
	v_add_u32_e32 v240, 64, v240                               // 00000001126C: 69E1E0C0
	s_nop 0                                                    // 000000011270: BF800000
	v_cndmask_b32_e64 v132, v69, v132, s[40:41]                // 000000011274: D1000084 00A30945
	v_cmp_le_u32_e64 s[40:41], v241, v41                       // 00000001127C: D0CB0028 000253F1
	v_add_u32_e32 v241, 64, v241                               // 000000011284: 69E3E2C0
	s_nop 0                                                    // 000000011288: BF800000
	v_cndmask_b32_e64 v133, v69, v133, s[40:41]                // 00000001128C: D1000085 00A30B45
	v_cmp_le_u32_e64 s[40:41], v242, v41                       // 000000011294: D0CB0028 000253F2
	v_add_u32_e32 v242, 64, v242                               // 00000001129C: 69E5E4C0
	s_nop 0                                                    // 0000000112A0: BF800000
	v_cndmask_b32_e64 v134, v69, v134, s[40:41]                // 0000000112A4: D1000086 00A30D45
	v_cmp_le_u32_e64 s[40:41], v243, v41                       // 0000000112AC: D0CB0028 000253F3
	v_add_u32_e32 v243, 64, v243                               // 0000000112B4: 69E7E6C0
	s_nop 0                                                    // 0000000112B8: BF800000
	v_cndmask_b32_e64 v135, v69, v135, s[40:41]                // 0000000112BC: D1000087 00A30F45
	v_cmp_le_u32_e64 s[40:41], v240, v41                       // 0000000112C4: D0CB0028 000253F0
	v_add_u32_e32 v240, 64, v240                               // 0000000112CC: 69E1E0C0
	s_nop 0                                                    // 0000000112D0: BF800000
	v_cndmask_b32_e64 v136, v69, v136, s[40:41]                // 0000000112D4: D1000088 00A31145
	v_cmp_le_u32_e64 s[40:41], v241, v41                       // 0000000112DC: D0CB0028 000253F1
	v_add_u32_e32 v241, 64, v241                               // 0000000112E4: 69E3E2C0
	s_nop 0                                                    // 0000000112E8: BF800000
	v_cndmask_b32_e64 v137, v69, v137, s[40:41]                // 0000000112EC: D1000089 00A31345
	v_cmp_le_u32_e64 s[40:41], v242, v41                       // 0000000112F4: D0CB0028 000253F2
	v_add_u32_e32 v242, 64, v242                               // 0000000112FC: 69E5E4C0
	s_nop 0                                                    // 000000011300: BF800000
	v_cndmask_b32_e64 v138, v69, v138, s[40:41]                // 000000011304: D100008A 00A31545
	v_cmp_le_u32_e64 s[40:41], v243, v41                       // 00000001130C: D0CB0028 000253F3
	v_add_u32_e32 v243, 64, v243                               // 000000011314: 69E7E6C0
	s_nop 0                                                    // 000000011318: BF800000
	v_cndmask_b32_e64 v139, v69, v139, s[40:41]                // 00000001131C: D100008B 00A31745
	v_cmp_le_u32_e64 s[40:41], v240, v41                       // 000000011324: D0CB0028 000253F0
	v_add_u32_e32 v240, 64, v240                               // 00000001132C: 69E1E0C0
	s_nop 0                                                    // 000000011330: BF800000
	v_cndmask_b32_e64 v140, v69, v140, s[40:41]                // 000000011334: D100008C 00A31945
	v_cmp_le_u32_e64 s[40:41], v241, v41                       // 00000001133C: D0CB0028 000253F1
	v_add_u32_e32 v241, 64, v241                               // 000000011344: 69E3E2C0
	s_nop 0                                                    // 000000011348: BF800000
	v_cndmask_b32_e64 v141, v69, v141, s[40:41]                // 00000001134C: D100008D 00A31B45
	v_cmp_le_u32_e64 s[40:41], v242, v41                       // 000000011354: D0CB0028 000253F2
	v_add_u32_e32 v242, 64, v242                               // 00000001135C: 69E5E4C0
	s_nop 0                                                    // 000000011360: BF800000
	v_cndmask_b32_e64 v142, v69, v142, s[40:41]                // 000000011364: D100008E 00A31D45
	v_cmp_le_u32_e64 s[40:41], v243, v41                       // 00000001136C: D0CB0028 000253F3
	v_add_u32_e32 v243, 64, v243                               // 000000011374: 69E7E6C0
	s_nop 0                                                    // 000000011378: BF800000
	v_cndmask_b32_e64 v143, v69, v143, s[40:41]                // 00000001137C: D100008F 00A31F45

0000000000011384 <label_3C61>:
	s_and_b32 s60, s72, 0xff                                   // 000000011384: 863CFF48 000000FF
	v_mov_b32_e32 v42, s60                                     // 00000001138C: 7E54023C
	v_lshrrev_b32_e32 v240, 4, v0                              // 000000011390: 21E00084
	v_mul_i32_i24_e32 v240, 4, v240                            // 000000011394: 0DE1E084
	s_mul_i32 s60, s7, 16                                      // 000000011398: 923C9007
	v_add_u32_e32 v240, s60, v240                              // 00000001139C: 69E1E03C
	v_add_u32_e32 v241, 1, v240                                // 0000000113A0: 69E3E081
	v_add_u32_e32 v242, 2, v240                                // 0000000113A4: 69E5E082
	v_add_u32_e32 v243, 3, v240                                // 0000000113A8: 69E7E083
	v_mov_b32_e32 v41, 0xff800000                              // 0000000113AC: 7E5202FF FF800000
	v_cmp_lt_u32_e64 s[40:41], v240, v42                       // 0000000113B4: D0C90028 000255F0
	v_add_u32_e32 v240, 64, v240                               // 0000000113BC: 69E1E0C0
	s_nop 0                                                    // 0000000113C0: BF800000
	v_cndmask_b32_e64 v128, v41, v128, s[40:41]                // 0000000113C4: D1000080 00A30129
	v_cmp_lt_u32_e64 s[40:41], v241, v42                       // 0000000113CC: D0C90028 000255F1
	v_add_u32_e32 v241, 64, v241                               // 0000000113D4: 69E3E2C0
	s_nop 0                                                    // 0000000113D8: BF800000
	v_cndmask_b32_e64 v129, v41, v129, s[40:41]                // 0000000113DC: D1000081 00A30329
	v_cmp_lt_u32_e64 s[40:41], v242, v42                       // 0000000113E4: D0C90028 000255F2
	v_add_u32_e32 v242, 64, v242                               // 0000000113EC: 69E5E4C0
	s_nop 0                                                    // 0000000113F0: BF800000
	v_cndmask_b32_e64 v130, v41, v130, s[40:41]                // 0000000113F4: D1000082 00A30529
	v_cmp_lt_u32_e64 s[40:41], v243, v42                       // 0000000113FC: D0C90028 000255F3
	v_add_u32_e32 v243, 64, v243                               // 000000011404: 69E7E6C0
	s_nop 0                                                    // 000000011408: BF800000
	v_cndmask_b32_e64 v131, v41, v131, s[40:41]                // 00000001140C: D1000083 00A30729
	v_cmp_lt_u32_e64 s[40:41], v240, v42                       // 000000011414: D0C90028 000255F0
	v_add_u32_e32 v240, 64, v240                               // 00000001141C: 69E1E0C0
	s_nop 0                                                    // 000000011420: BF800000
	v_cndmask_b32_e64 v132, v41, v132, s[40:41]                // 000000011424: D1000084 00A30929
	v_cmp_lt_u32_e64 s[40:41], v241, v42                       // 00000001142C: D0C90028 000255F1
	v_add_u32_e32 v241, 64, v241                               // 000000011434: 69E3E2C0
	s_nop 0                                                    // 000000011438: BF800000
	v_cndmask_b32_e64 v133, v41, v133, s[40:41]                // 00000001143C: D1000085 00A30B29
	v_cmp_lt_u32_e64 s[40:41], v242, v42                       // 000000011444: D0C90028 000255F2
	v_add_u32_e32 v242, 64, v242                               // 00000001144C: 69E5E4C0
	s_nop 0                                                    // 000000011450: BF800000
	v_cndmask_b32_e64 v134, v41, v134, s[40:41]                // 000000011454: D1000086 00A30D29
	v_cmp_lt_u32_e64 s[40:41], v243, v42                       // 00000001145C: D0C90028 000255F3
	v_add_u32_e32 v243, 64, v243                               // 000000011464: 69E7E6C0
	s_nop 0                                                    // 000000011468: BF800000
	v_cndmask_b32_e64 v135, v41, v135, s[40:41]                // 00000001146C: D1000087 00A30F29
	v_cmp_lt_u32_e64 s[40:41], v240, v42                       // 000000011474: D0C90028 000255F0
	v_add_u32_e32 v240, 64, v240                               // 00000001147C: 69E1E0C0
	s_nop 0                                                    // 000000011480: BF800000
	v_cndmask_b32_e64 v136, v41, v136, s[40:41]                // 000000011484: D1000088 00A31129
	v_cmp_lt_u32_e64 s[40:41], v241, v42                       // 00000001148C: D0C90028 000255F1
	v_add_u32_e32 v241, 64, v241                               // 000000011494: 69E3E2C0
	s_nop 0                                                    // 000000011498: BF800000
	v_cndmask_b32_e64 v137, v41, v137, s[40:41]                // 00000001149C: D1000089 00A31329
	v_cmp_lt_u32_e64 s[40:41], v242, v42                       // 0000000114A4: D0C90028 000255F2
	v_add_u32_e32 v242, 64, v242                               // 0000000114AC: 69E5E4C0
	s_nop 0                                                    // 0000000114B0: BF800000
	v_cndmask_b32_e64 v138, v41, v138, s[40:41]                // 0000000114B4: D100008A 00A31529
	v_cmp_lt_u32_e64 s[40:41], v243, v42                       // 0000000114BC: D0C90028 000255F3
	v_add_u32_e32 v243, 64, v243                               // 0000000114C4: 69E7E6C0
	s_nop 0                                                    // 0000000114C8: BF800000
	v_cndmask_b32_e64 v139, v41, v139, s[40:41]                // 0000000114CC: D100008B 00A31729
	v_cmp_lt_u32_e64 s[40:41], v240, v42                       // 0000000114D4: D0C90028 000255F0
	v_add_u32_e32 v240, 64, v240                               // 0000000114DC: 69E1E0C0
	s_nop 0                                                    // 0000000114E0: BF800000
	v_cndmask_b32_e64 v140, v41, v140, s[40:41]                // 0000000114E4: D100008C 00A31929
	v_cmp_lt_u32_e64 s[40:41], v241, v42                       // 0000000114EC: D0C90028 000255F1
	v_add_u32_e32 v241, 64, v241                               // 0000000114F4: 69E3E2C0
	s_nop 0                                                    // 0000000114F8: BF800000
	v_cndmask_b32_e64 v141, v41, v141, s[40:41]                // 0000000114FC: D100008D 00A31B29
	v_cmp_lt_u32_e64 s[40:41], v242, v42                       // 000000011504: D0C90028 000255F2
	v_add_u32_e32 v242, 64, v242                               // 00000001150C: 69E5E4C0
	s_nop 0                                                    // 000000011510: BF800000
	v_cndmask_b32_e64 v142, v41, v142, s[40:41]                // 000000011514: D100008E 00A31D29
	v_cmp_lt_u32_e64 s[40:41], v243, v42                       // 00000001151C: D0C90028 000255F3
	v_add_u32_e32 v243, 64, v243                               // 000000011524: 69E7E6C0
	s_nop 0                                                    // 000000011528: BF800000
	v_cndmask_b32_e64 v143, v41, v143, s[40:41]                // 00000001152C: D100008F 00A31F29
	v_mov_b32_e32 v62, v128                                    // 000000011534: 7E7C0380
	v_max3_f32 v62, v128, v129, v62                            // 000000011538: D1D3003E 04FB0380
	v_max3_f32 v62, v130, v131, v62                            // 000000011540: D1D3003E 04FB0782
	v_max3_f32 v62, v132, v133, v62                            // 000000011548: D1D3003E 04FB0B84
	v_max3_f32 v62, v134, v135, v62                            // 000000011550: D1D3003E 04FB0F86
	v_max3_f32 v62, v136, v137, v62                            // 000000011558: D1D3003E 04FB1388
	v_max3_f32 v62, v138, v139, v62                            // 000000011560: D1D3003E 04FB178A
	v_max3_f32 v62, v140, v141, v62                            // 000000011568: D1D3003E 04FB1B8C
	v_max3_f32 v62, v142, v143, v62                            // 000000011570: D1D3003E 04FB1F8E
	ds_write_b32 v11, v62 offset:16896                         // 000000011578: D81A4200 00003E0B
	v_mul_u32_u24_dpp v41, v20, v68 row_newbcast:1 row_mask:0xf bank_mask:0xf// 000000011580: 105288FA FF015114
	v_mul_u32_u24_dpp v42, v20, v68 row_newbcast:5 row_mask:0xf bank_mask:0xf// 000000011588: 105488FA FF015514
	v_mul_u32_u24_dpp v43, v20, v68 row_newbcast:9 row_mask:0xf bank_mask:0xf// 000000011590: 105688FA FF015914
	v_mul_u32_u24_dpp v44, v20, v68 row_newbcast:13 row_mask:0xf bank_mask:0xf// 000000011598: 105888FA FF015D14
	v_add_u32_e32 v37, v41, v7                                 // 0000000115A0: 684A0F29
	v_add_u32_e32 v38, v42, v7                                 // 0000000115A4: 684C0F2A
	v_add_u32_e32 v39, v43, v7                                 // 0000000115A8: 684E0F2B
	v_add_u32_e32 v40, v44, v7                                 // 0000000115AC: 68500F2C
	v_mul_f32_e32 v224, v63, v224                              // 0000000115B0: 0BC1C13F
	v_mul_f32_e32 v225, v63, v225                              // 0000000115B4: 0BC3C33F
	v_mul_f32_e32 v226, v63, v226                              // 0000000115B8: 0BC5C53F
	v_mul_f32_e32 v227, v63, v227                              // 0000000115BC: 0BC7C73F
	v_mul_f32_e32 v228, v63, v228                              // 0000000115C0: 0BC9C93F
	v_mul_f32_e32 v229, v63, v229                              // 0000000115C4: 0BCBCB3F
	v_mul_f32_e32 v230, v63, v230                              // 0000000115C8: 0BCDCD3F
	v_mul_f32_e32 v231, v63, v231                              // 0000000115CC: 0BCFCF3F
	s_waitcnt lgkmcnt(0)                                       // 0000000115D0: BF8CC07F
	s_barrier                                                  // 0000000115D4: BF8A0000
	ds_read_b32 v80, v10 offset:16896                          // 0000000115D8: D86C4200 5000000A
	ds_read_b32 v81, v10 offset:16960                          // 0000000115E0: D86C4240 5100000A
	ds_read_b32 v82, v10 offset:17024                          // 0000000115E8: D86C4280 5200000A
	ds_read_b32 v83, v10 offset:17088                          // 0000000115F0: D86C42C0 5300000A
	ds_read_b32 v84, v10 offset:17152                          // 0000000115F8: D86C4300 5400000A
	ds_read_b32 v85, v10 offset:17216                          // 000000011600: D86C4340 5500000A
	ds_read_b32 v86, v10 offset:17280                          // 000000011608: D86C4380 5600000A
	ds_read_b32 v87, v10 offset:17344                          // 000000011610: D86C43C0 5700000A
	ds_read_b32 v88, v10 offset:17408                          // 000000011618: D86C4400 5800000A
	ds_read_b32 v89, v10 offset:17472                          // 000000011620: D86C4440 5900000A
	ds_read_b32 v90, v10 offset:17536                          // 000000011628: D86C4480 5A00000A
	ds_read_b32 v91, v10 offset:17600                          // 000000011630: D86C44C0 5B00000A
	ds_read_b32 v92, v10 offset:17664                          // 000000011638: D86C4500 5C00000A
	ds_read_b32 v93, v10 offset:17728                          // 000000011640: D86C4540 5D00000A
	ds_read_b32 v94, v10 offset:17792                          // 000000011648: D86C4580 5E00000A
	ds_read_b32 v95, v10 offset:17856                          // 000000011650: D86C45C0 5F00000A
	v_cvt_f32_i32_e32 v192, v192                               // 000000011658: 7F800BC0
	v_cvt_f32_i32_e32 v193, v193                               // 00000001165C: 7F820BC1
	v_cvt_f32_i32_e32 v194, v194                               // 000000011660: 7F840BC2
	v_cvt_f32_i32_e32 v195, v195                               // 000000011664: 7F860BC3
	v_cvt_f32_i32_e32 v196, v196                               // 000000011668: 7F880BC4
	v_cvt_f32_i32_e32 v197, v197                               // 00000001166C: 7F8A0BC5
	v_cvt_f32_i32_e32 v198, v198                               // 000000011670: 7F8C0BC6
	v_cvt_f32_i32_e32 v199, v199                               // 000000011674: 7F8E0BC7
	v_mul_f32_e32 v192, v58, v192                              // 000000011678: 0B81813A
	v_mul_f32_e32 v193, v58, v193                              // 00000001167C: 0B83833A
	v_mul_f32_e32 v194, v58, v194                              // 000000011680: 0B85853A
	v_mul_f32_e32 v195, v58, v195                              // 000000011684: 0B87873A
	v_mul_f32_e32 v196, v58, v196                              // 000000011688: 0B89893A
	v_mul_f32_e32 v197, v58, v197                              // 00000001168C: 0B8B8B3A
	v_mul_f32_e32 v198, v58, v198                              // 000000011690: 0B8D8D3A
	v_mul_f32_e32 v199, v58, v199                              // 000000011694: 0B8F8F3A
	s_waitcnt lgkmcnt(0)                                       // 000000011698: BF8CC07F
	v_max3_f32 v62, v80, v81, v62                              // 00000001169C: D1D3003E 04FAA350
	v_max3_f32 v62, v82, v83, v62                              // 0000000116A4: D1D3003E 04FAA752
	v_max3_f32 v62, v84, v85, v62                              // 0000000116AC: D1D3003E 04FAAB54
	v_max3_f32 v62, v86, v87, v62                              // 0000000116B4: D1D3003E 04FAAF56
	v_max3_f32 v62, v88, v89, v62                              // 0000000116BC: D1D3003E 04FAB358
	v_max3_f32 v62, v90, v91, v62                              // 0000000116C4: D1D3003E 04FAB75A
	v_max3_f32 v62, v92, v93, v62                              // 0000000116CC: D1D3003E 04FABB5C
	v_max3_f32 v62, v94, v95, v62                              // 0000000116D4: D1D3003E 04FABF5E
	v_mov_b32_e32 v41, 0xff800000                              // 0000000116DC: 7E5202FF FF800000
	v_cmp_eq_u32_e64 s[40:41], v41, v14                        // 0000000116E4: D0CA0028 00021D29
	s_nop 1                                                    // 0000000116EC: BF800001
	v_max_f32_e32 v18, v62, v14                                // 0000000116F0: 16241D3E
	v_mul_f32_e32 v67, s64, v18                                // 0000000116F4: 0A862440
	v_fma_f32 v128, v128, s64, -v67                            // 0000000116F8: D1CB0080 850C8180
	v_fma_f32 v129, v129, s64, -v67                            // 000000011700: D1CB0081 850C8181
	v_fma_f32 v130, v130, s64, -v67                            // 000000011708: D1CB0082 850C8182
	v_fma_f32 v131, v131, s64, -v67                            // 000000011710: D1CB0083 850C8183
	v_fma_f32 v132, v132, s64, -v67                            // 000000011718: D1CB0084 850C8184
	v_fma_f32 v133, v133, s64, -v67                            // 000000011720: D1CB0085 850C8185
	v_fma_f32 v134, v134, s64, -v67                            // 000000011728: D1CB0086 850C8186
	v_fma_f32 v135, v135, s64, -v67                            // 000000011730: D1CB0087 850C8187
	v_fma_f32 v136, v136, s64, -v67                            // 000000011738: D1CB0088 850C8188
	v_fma_f32 v137, v137, s64, -v67                            // 000000011740: D1CB0089 850C8189
	v_fma_f32 v138, v138, s64, -v67                            // 000000011748: D1CB008A 850C818A
	v_fma_f32 v139, v139, s64, -v67                            // 000000011750: D1CB008B 850C818B
	v_fma_f32 v140, v140, s64, -v67                            // 000000011758: D1CB008C 850C818C
	v_fma_f32 v141, v141, s64, -v67                            // 000000011760: D1CB008D 850C818D
	v_fma_f32 v142, v142, s64, -v67                            // 000000011768: D1CB008E 850C818E
	v_fma_f32 v143, v143, s64, -v67                            // 000000011770: D1CB008F 850C818F
	v_exp_f32_e32 v128, v128                                   // 000000011778: 7F004180
	v_exp_f32_e32 v129, v129                                   // 00000001177C: 7F024181
	v_exp_f32_e32 v130, v130                                   // 000000011780: 7F044182
	v_exp_f32_e32 v131, v131                                   // 000000011784: 7F064183
	v_exp_f32_e32 v132, v132                                   // 000000011788: 7F084184
	v_exp_f32_e32 v133, v133                                   // 00000001178C: 7F0A4185
	v_exp_f32_e32 v134, v134                                   // 000000011790: 7F0C4186
	v_exp_f32_e32 v135, v135                                   // 000000011794: 7F0E4187
	v_exp_f32_e32 v136, v136                                   // 000000011798: 7F104188
	v_exp_f32_e32 v137, v137                                   // 00000001179C: 7F124189
	v_exp_f32_e32 v138, v138                                   // 0000000117A0: 7F14418A
	v_exp_f32_e32 v139, v139                                   // 0000000117A4: 7F16418B
	v_exp_f32_e32 v140, v140                                   // 0000000117A8: 7F18418C
	v_exp_f32_e32 v141, v141                                   // 0000000117AC: 7F1A418D
	v_exp_f32_e32 v142, v142                                   // 0000000117B0: 7F1C418E
	v_exp_f32_e32 v143, v143                                   // 0000000117B4: 7F1E418F
	v_mul_f32_dpp v240, v252, v128 quad_perm:[0,0,0,0] row_mask:0xf bank_mask:0xf// 0000000117B8: 0BE100FA FF0000FC
	v_mul_f32_dpp v241, v252, v129 quad_perm:[1,1,1,1] row_mask:0xf bank_mask:0xf// 0000000117C0: 0BE302FA FF0055FC
	v_mul_f32_dpp v242, v252, v130 quad_perm:[2,2,2,2] row_mask:0xf bank_mask:0xf// 0000000117C8: 0BE504FA FF00AAFC
	v_mul_f32_dpp v243, v252, v131 quad_perm:[3,3,3,3] row_mask:0xf bank_mask:0xf// 0000000117D0: 0BE706FA FF00FFFC
	v_mul_f32_dpp v244, v253, v132 quad_perm:[0,0,0,0] row_mask:0xf bank_mask:0xf// 0000000117D8: 0BE908FA FF0000FD
	v_mul_f32_dpp v245, v253, v133 quad_perm:[1,1,1,1] row_mask:0xf bank_mask:0xf// 0000000117E0: 0BEB0AFA FF0055FD
	v_mul_f32_dpp v246, v253, v134 quad_perm:[2,2,2,2] row_mask:0xf bank_mask:0xf// 0000000117E8: 0BED0CFA FF00AAFD
	v_mul_f32_dpp v247, v253, v135 quad_perm:[3,3,3,3] row_mask:0xf bank_mask:0xf// 0000000117F0: 0BEF0EFA FF00FFFD
	v_mul_f32_dpp v248, v254, v136 quad_perm:[0,0,0,0] row_mask:0xf bank_mask:0xf// 0000000117F8: 0BF110FA FF0000FE
	v_mul_f32_dpp v249, v254, v137 quad_perm:[1,1,1,1] row_mask:0xf bank_mask:0xf// 000000011800: 0BF312FA FF0055FE
	v_mul_f32_dpp v250, v254, v138 quad_perm:[2,2,2,2] row_mask:0xf bank_mask:0xf// 000000011808: 0BF514FA FF00AAFE
	v_mul_f32_dpp v251, v254, v139 quad_perm:[3,3,3,3] row_mask:0xf bank_mask:0xf// 000000011810: 0BF716FA FF00FFFE
	v_mul_f32_dpp v252, v255, v140 quad_perm:[0,0,0,0] row_mask:0xf bank_mask:0xf// 000000011818: 0BF918FA FF0000FF
	v_mul_f32_dpp v253, v255, v141 quad_perm:[1,1,1,1] row_mask:0xf bank_mask:0xf// 000000011820: 0BFB1AFA FF0055FF
	v_mul_f32_dpp v254, v255, v142 quad_perm:[2,2,2,2] row_mask:0xf bank_mask:0xf// 000000011828: 0BFD1CFA FF00AAFF
	v_mul_f32_dpp v255, v255, v143 quad_perm:[3,3,3,3] row_mask:0xf bank_mask:0xf// 000000011830: 0BFF1EFA FF00FFFF
	v_mov_b32_e32 v62, 0x358637bd                              // 000000011838: 7E7C02FF 358637BD
	v_max3_f32 v62, |v240|, |v241|, v62                        // 000000011840: D1D3033E 04FBE3F0
	v_max3_f32 v62, |v242|, |v243|, v62                        // 000000011848: D1D3033E 04FBE7F2
	v_max3_f32 v62, |v244|, |v245|, v62                        // 000000011850: D1D3033E 04FBEBF4
	v_max3_f32 v62, |v246|, |v247|, v62                        // 000000011858: D1D3033E 04FBEFF6
	v_max3_f32 v62, |v248|, |v249|, v62                        // 000000011860: D1D3033E 04FBF3F8
	v_max3_f32 v62, |v250|, |v251|, v62                        // 000000011868: D1D3033E 04FBF7FA
	v_max3_f32 v62, |v252|, |v253|, v62                        // 000000011870: D1D3033E 04FBFBFC
	v_max3_f32 v62, |v254|, |v255|, v62                        // 000000011878: D1D3033E 04FBFFFE
	ds_write_b32 v11, v62 offset:20992                         // 000000011880: D81A5200 00003E0B
	v_sub_f32_e32 v63, v14, v18                                // 000000011888: 047E250E
	v_cndmask_b32_e64 v63, v63, 0, s[40:41]                    // 00000001188C: D100003F 00A1013F
	v_mov_b32_e32 v14, v18                                     // 000000011894: 7E1C0312
	v_mul_f32_e32 v63, s64, v63                                // 000000011898: 0A7E7E40
	v_exp_f32_e32 v63, v63                                     // 00000001189C: 7E7E413F
	s_waitcnt lgkmcnt(0)                                       // 0000000118A0: BF8CC07F
	s_barrier                                                  // 0000000118A4: BF8A0000
	ds_read_b32 v80, v10 offset:20992                          // 0000000118A8: D86C5200 5000000A
	ds_read_b32 v81, v10 offset:21056                          // 0000000118B0: D86C5240 5100000A
	ds_read_b32 v82, v10 offset:21120                          // 0000000118B8: D86C5280 5200000A
	ds_read_b32 v83, v10 offset:21184                          // 0000000118C0: D86C52C0 5300000A
	ds_read_b32 v84, v10 offset:21248                          // 0000000118C8: D86C5300 5400000A
	ds_read_b32 v85, v10 offset:21312                          // 0000000118D0: D86C5340 5500000A
	ds_read_b32 v86, v10 offset:21376                          // 0000000118D8: D86C5380 5600000A
	ds_read_b32 v87, v10 offset:21440                          // 0000000118E0: D86C53C0 5700000A
	ds_read_b32 v88, v10 offset:21504                          // 0000000118E8: D86C5400 5800000A
	ds_read_b32 v89, v10 offset:21568                          // 0000000118F0: D86C5440 5900000A
	ds_read_b32 v90, v10 offset:21632                          // 0000000118F8: D86C5480 5A00000A
	ds_read_b32 v91, v10 offset:21696                          // 000000011900: D86C54C0 5B00000A
	ds_read_b32 v92, v10 offset:21760                          // 000000011908: D86C5500 5C00000A
	ds_read_b32 v93, v10 offset:21824                          // 000000011910: D86C5540 5D00000A
	ds_read_b32 v94, v10 offset:21888                          // 000000011918: D86C5580 5E00000A
	ds_read_b32 v95, v10 offset:21952                          // 000000011920: D86C55C0 5F00000A
	v_mul_f32_e32 v47, v63, v47                                // 000000011928: 0A5E5F3F
	v_mov_b32_e32 v18, v128                                    // 00000001192C: 7E240380
	v_add_f32_e32 v18, v129, v18                               // 000000011930: 02242581
	v_add_f32_e32 v18, v130, v18                               // 000000011934: 02242582
	;; [unrolled: 1-line block ×3, first 2 shown]
	v_add_f32_e32 v18, v132, v18                               // 00000001193C: 02242584
	v_add_f32_e32 v18, v133, v18                               // 000000011940: 02242585
	v_add_f32_e32 v18, v134, v18                               // 000000011944: 02242586
	;; [unrolled: 1-line block ×3, first 2 shown]
	v_add_f32_e32 v18, v136, v18                               // 00000001194C: 02242588
	v_add_f32_e32 v18, v137, v18                               // 000000011950: 02242589
	v_add_f32_e32 v18, v138, v18                               // 000000011954: 0224258A
	v_add_f32_e32 v18, v139, v18                               // 000000011958: 0224258B
	v_add_f32_e32 v18, v140, v18                               // 00000001195C: 0224258C
	v_add_f32_e32 v18, v141, v18                               // 000000011960: 0224258D
	v_add_f32_e32 v18, v142, v18                               // 000000011964: 0224258E
	v_add_f32_e32 v18, v143, v18                               // 000000011968: 0224258F
	v_add_f32_e32 v47, v18, v47                                // 00000001196C: 025E5F12
	s_waitcnt lgkmcnt(0)                                       // 000000011970: BF8CC07F
	v_max3_f32 v62, |v80|, |v81|, v62                          // 000000011974: D1D3033E 04FAA350
	v_max3_f32 v62, |v82|, |v83|, v62                          // 00000001197C: D1D3033E 04FAA752
	v_max3_f32 v62, |v84|, |v85|, v62                          // 000000011984: D1D3033E 04FAAB54
	v_max3_f32 v62, |v86|, |v87|, v62                          // 00000001198C: D1D3033E 04FAAF56
	v_max3_f32 v62, |v88|, |v89|, v62                          // 000000011994: D1D3033E 04FAB358
	v_max3_f32 v62, |v90|, |v91|, v62                          // 00000001199C: D1D3033E 04FAB75A
	v_max3_f32 v62, |v92|, |v93|, v62                          // 0000000119A4: D1D3033E 04FABB5C
	v_max3_f32 v62, |v94|, |v95|, v62                          // 0000000119AC: D1D3033E 04FABF5E
	s_nop 2                                                    // 0000000119B4: BF800002
	v_rcp_f32_e32 v62, v62                                     // 0000000119B8: 7E7C453E
	s_nop 1                                                    // 0000000119BC: BF800001
	v_mul_f32_e32 v62, 0x42fe0000, v62                         // 0000000119C0: 0A7C7CFF 42FE0000
	v_mul_f32_e32 v128, v62, v240                              // 0000000119C8: 0B01E13E
	v_mul_f32_e32 v129, v62, v241                              // 0000000119CC: 0B03E33E
	v_mul_f32_e32 v130, v62, v242                              // 0000000119D0: 0B05E53E
	v_mul_f32_e32 v131, v62, v243                              // 0000000119D4: 0B07E73E
	v_mul_f32_e32 v132, v62, v244                              // 0000000119D8: 0B09E93E
	v_mul_f32_e32 v133, v62, v245                              // 0000000119DC: 0B0BEB3E
	v_mul_f32_e32 v134, v62, v246                              // 0000000119E0: 0B0DED3E
	v_mul_f32_e32 v135, v62, v247                              // 0000000119E4: 0B0FEF3E
	v_mul_f32_e32 v136, v62, v248                              // 0000000119E8: 0B11F13E
	v_mul_f32_e32 v137, v62, v249                              // 0000000119EC: 0B13F33E
	v_mul_f32_e32 v138, v62, v250                              // 0000000119F0: 0B15F53E
	v_mul_f32_e32 v139, v62, v251                              // 0000000119F4: 0B17F73E
	v_mul_f32_e32 v140, v62, v252                              // 0000000119F8: 0B19F93E
	v_mul_f32_e32 v141, v62, v253                              // 0000000119FC: 0B1BFB3E
	v_mul_f32_e32 v142, v62, v254                              // 000000011A00: 0B1DFD3E
	v_mul_f32_e32 v143, v62, v255                              // 000000011A04: 0B1FFF3E
	v_cvt_i32_f32_e32 v128, v128                               // 000000011A08: 7F001180
	v_cvt_i32_f32_e32 v129, v129                               // 000000011A0C: 7F021181
	v_cvt_i32_f32_e32 v130, v130                               // 000000011A10: 7F041182
	v_cvt_i32_f32_e32 v131, v131                               // 000000011A14: 7F061183
	v_cvt_i32_f32_e32 v132, v132                               // 000000011A18: 7F081184
	v_cvt_i32_f32_e32 v133, v133                               // 000000011A1C: 7F0A1185
	v_cvt_i32_f32_e32 v134, v134                               // 000000011A20: 7F0C1186
	v_cvt_i32_f32_e32 v135, v135                               // 000000011A24: 7F0E1187
	v_cvt_i32_f32_e32 v136, v136                               // 000000011A28: 7F101188
	v_cvt_i32_f32_e32 v137, v137                               // 000000011A2C: 7F121189
	v_cvt_i32_f32_e32 v138, v138                               // 000000011A30: 7F14118A
	v_cvt_i32_f32_e32 v139, v139                               // 000000011A34: 7F16118B
	v_cvt_i32_f32_e32 v140, v140                               // 000000011A38: 7F18118C
	v_cvt_i32_f32_e32 v141, v141                               // 000000011A3C: 7F1A118D
	v_cvt_i32_f32_e32 v142, v142                               // 000000011A40: 7F1C118E
	v_cvt_i32_f32_e32 v143, v143                               // 000000011A44: 7F1E118F
	v_perm_b32 v128, v129, v128, s53                           // 000000011A48: D1ED0080 00D70181
	v_perm_b32 v128, v130, v128, s54                           // 000000011A50: D1ED0080 00DB0182
	v_perm_b32 v128, v131, v128, s55                           // 000000011A58: D1ED0080 00DF0183
	v_perm_b32 v129, v133, v132, s53                           // 000000011A60: D1ED0081 00D70985
	v_perm_b32 v129, v134, v129, s54                           // 000000011A68: D1ED0081 00DB0386
	v_perm_b32 v129, v135, v129, s55                           // 000000011A70: D1ED0081 00DF0387
	v_perm_b32 v130, v137, v136, s53                           // 000000011A78: D1ED0082 00D71189
	v_perm_b32 v130, v138, v130, s54                           // 000000011A80: D1ED0082 00DB058A
	v_perm_b32 v130, v139, v130, s55                           // 000000011A88: D1ED0082 00DF058B
	v_perm_b32 v131, v141, v140, s53                           // 000000011A90: D1ED0083 00D7198D
	v_perm_b32 v131, v142, v131, s54                           // 000000011A98: D1ED0083 00DB078E
	v_perm_b32 v131, v143, v131, s55                           // 000000011AA0: D1ED0083 00DF078F
	ds_write_b32 v13, v128 offset:25088                        // 000000011AA8: D81A6200 0000800D
	ds_write_b32 v13, v129 offset:26112                        // 000000011AB0: D81A6600 0000810D
	ds_write_b32 v13, v130 offset:27136                        // 000000011AB8: D81A6A00 0000820D
	ds_write_b32 v13, v131 offset:28160                        // 000000011AC0: D81A6E00 0000830D
	v_add_f32_e32 v224, v224, v192                             // 000000011AC8: 03C181E0
	v_add_f32_e32 v225, v225, v193                             // 000000011ACC: 03C383E1
	v_add_f32_e32 v226, v226, v194                             // 000000011AD0: 03C585E2
	v_add_f32_e32 v227, v227, v195                             // 000000011AD4: 03C787E3
	v_add_f32_e32 v228, v228, v196                             // 000000011AD8: 03C989E4
	v_add_f32_e32 v229, v229, v197                             // 000000011ADC: 03CB8BE5
	v_add_f32_e32 v230, v230, v198                             // 000000011AE0: 03CD8DE6
	v_add_f32_e32 v231, v231, v199                             // 000000011AE4: 03CF8FE7
	v_rcp_f32_e32 v58, v62                                     // 000000011AE8: 7E74453E
	s_waitcnt lgkmcnt(0)                                       // 000000011AEC: BF8CC07F
	s_barrier                                                  // 000000011AF0: BF8A0000
	ds_read_b64 v[128:129], v12 offset:25088                   // 000000011AF4: D8EC6200 8000000C
	ds_read_b64 v[130:131], v12 offset:25216                   // 000000011AFC: D8EC6280 8200000C
	ds_read_b64 v[132:133], v12 offset:26112                   // 000000011B04: D8EC6600 8400000C
	ds_read_b64 v[134:135], v12 offset:26240                   // 000000011B0C: D8EC6680 8600000C
	ds_read_b64 v[136:137], v12 offset:27136                   // 000000011B14: D8EC6A00 8800000C
	ds_read_b64 v[138:139], v12 offset:27264                   // 000000011B1C: D8EC6A80 8A00000C
	ds_read_b64 v[140:141], v12 offset:28160                   // 000000011B24: D8EC6E00 8C00000C
	ds_read_b64 v[142:143], v12 offset:28288                   // 000000011B2C: D8EC6E80 8E00000C
	v_mov_b32_dpp v41, v52 row_shr:4 row_mask:0xf bank_mask:0xf// 000000011B34: 7E5202FA FF011434
	v_mov_b32_dpp v42, v52 row_shl:4 row_mask:0xf bank_mask:0xf// 000000011B3C: 7E5402FA FF010434
	v_cndmask_b32_e64 v248, v52, v41, s[44:45]                 // 000000011B44: D10000F8 00B25334
	v_cndmask_b32_e64 v249, v42, v52, s[44:45]                 // 000000011B4C: D10000F9 00B2692A
	v_mov_b32_dpp v41, v248 row_shr:8 row_mask:0xf bank_mask:0xf// 000000011B54: 7E5202FA FF0118F8
	v_mov_b32_dpp v42, v248 row_shl:8 row_mask:0xf bank_mask:0xf// 000000011B5C: 7E5402FA FF0108F8
	v_mov_b32_dpp v43, v249 row_shr:8 row_mask:0xf bank_mask:0xf// 000000011B64: 7E5602FA FF0118F9
	v_mov_b32_dpp v44, v249 row_shl:8 row_mask:0xf bank_mask:0xf// 000000011B6C: 7E5802FA FF0108F9
	v_mov_b32_e32 v45, v248                                    // 000000011B74: 7E5A03F8
	v_mov_b32_e32 v46, v249                                    // 000000011B78: 7E5C03F9
	v_cndmask_b32_e64 v248, v45, v41, s[42:43]                 // 000000011B7C: D10000F8 00AA532D
	v_cndmask_b32_e64 v250, v45, v42, s[78:79]                 // 000000011B84: D10000FA 013A552D
	v_cndmask_b32_e64 v249, v46, v43, s[42:43]                 // 000000011B8C: D10000F9 00AA572E
	v_cndmask_b32_e64 v251, v46, v44, s[78:79]                 // 000000011B94: D10000FB 013A592E
	v_mov_b32_dpp v41, v72 row_shr:4 row_mask:0xf bank_mask:0xf// 000000011B9C: 7E5202FA FF011448
	v_mov_b32_dpp v42, v72 row_shl:4 row_mask:0xf bank_mask:0xf// 000000011BA4: 7E5402FA FF010448
	v_cndmask_b32_e64 v252, v72, v41, s[44:45]                 // 000000011BAC: D10000FC 00B25348
	v_cndmask_b32_e64 v253, v42, v72, s[44:45]                 // 000000011BB4: D10000FD 00B2912A
	v_mov_b32_dpp v41, v252 row_shr:8 row_mask:0xf bank_mask:0xf// 000000011BBC: 7E5202FA FF0118FC
	v_mov_b32_dpp v42, v252 row_shl:8 row_mask:0xf bank_mask:0xf// 000000011BC4: 7E5402FA FF0108FC
	v_mov_b32_dpp v43, v253 row_shr:8 row_mask:0xf bank_mask:0xf// 000000011BCC: 7E5602FA FF0118FD
	v_mov_b32_dpp v44, v253 row_shl:8 row_mask:0xf bank_mask:0xf// 000000011BD4: 7E5802FA FF0108FD
	v_mov_b32_e32 v45, v252                                    // 000000011BDC: 7E5A03FC
	v_mov_b32_e32 v46, v253                                    // 000000011BE0: 7E5C03FD
	v_cndmask_b32_e64 v252, v45, v41, s[42:43]                 // 000000011BE4: D10000FC 00AA532D
	v_cndmask_b32_e64 v254, v45, v42, s[78:79]                 // 000000011BEC: D10000FE 013A552D
	v_cndmask_b32_e64 v253, v46, v43, s[42:43]                 // 000000011BF4: D10000FD 00AA572E
	v_cndmask_b32_e64 v255, v46, v44, s[78:79]                 // 000000011BFC: D10000FF 013A592E
	v_cvt_f32_i32_e32 v144, v144                               // 000000011C04: 7F200B90
	v_cvt_f32_i32_e32 v145, v145                               // 000000011C08: 7F220B91
	v_cvt_f32_i32_e32 v146, v146                               // 000000011C0C: 7F240B92
	v_cvt_f32_i32_e32 v147, v147                               // 000000011C10: 7F260B93
	v_cvt_f32_i32_e32 v148, v148                               // 000000011C14: 7F280B94
	v_cvt_f32_i32_e32 v149, v149                               // 000000011C18: 7F2A0B95
	v_cvt_f32_i32_e32 v150, v150                               // 000000011C1C: 7F2C0B96
	v_cvt_f32_i32_e32 v151, v151                               // 000000011C20: 7F2E0B97
	v_cvt_f32_i32_e32 v152, v152                               // 000000011C24: 7F300B98
	v_cvt_f32_i32_e32 v153, v153                               // 000000011C28: 7F320B99
	v_cvt_f32_i32_e32 v154, v154                               // 000000011C2C: 7F340B9A
	v_cvt_f32_i32_e32 v155, v155                               // 000000011C30: 7F360B9B
	v_cvt_f32_i32_e32 v156, v156                               // 000000011C34: 7F380B9C
	v_cvt_f32_i32_e32 v157, v157                               // 000000011C38: 7F3A0B9D
	v_cvt_f32_i32_e32 v158, v158                               // 000000011C3C: 7F3C0B9E
	v_cvt_f32_i32_e32 v159, v159                               // 000000011C40: 7F3E0B9F
	v_mul_f32_e32 v144, v55, v144                              // 000000011C44: 0B212137
	v_mul_f32_e32 v145, v55, v145                              // 000000011C48: 0B232337
	v_mul_f32_e32 v146, v55, v146                              // 000000011C4C: 0B252537
	v_mul_f32_e32 v147, v55, v147                              // 000000011C50: 0B272737
	v_mul_f32_e32 v148, v55, v148                              // 000000011C54: 0B292937
	v_mul_f32_e32 v149, v55, v149                              // 000000011C58: 0B2B2B37
	v_mul_f32_e32 v150, v55, v150                              // 000000011C5C: 0B2D2D37
	v_mul_f32_e32 v151, v55, v151                              // 000000011C60: 0B2F2F37
	v_mul_f32_e32 v152, v55, v152                              // 000000011C64: 0B313137
	v_mul_f32_e32 v153, v55, v153                              // 000000011C68: 0B333337
	v_mul_f32_e32 v154, v55, v154                              // 000000011C6C: 0B353537
	v_mul_f32_e32 v155, v55, v155                              // 000000011C70: 0B373737
	v_mul_f32_e32 v156, v55, v156                              // 000000011C74: 0B393937
	v_mul_f32_e32 v157, v55, v157                              // 000000011C78: 0B3B3B37
	v_mul_f32_e32 v158, v55, v158                              // 000000011C7C: 0B3D3D37
	v_mul_f32_e32 v159, v55, v159                              // 000000011C80: 0B3F3F37
	v_mul_f32_dpp v144, v248, v144 quad_perm:[0,0,0,0] row_mask:0xf bank_mask:0xf// 000000011C84: 0B2120FA FF0000F8
	v_mul_f32_dpp v145, v248, v145 quad_perm:[1,1,1,1] row_mask:0xf bank_mask:0xf// 000000011C8C: 0B2322FA FF0055F8
	v_mul_f32_dpp v146, v248, v146 quad_perm:[2,2,2,2] row_mask:0xf bank_mask:0xf// 000000011C94: 0B2524FA FF00AAF8
	v_mul_f32_dpp v147, v248, v147 quad_perm:[3,3,3,3] row_mask:0xf bank_mask:0xf// 000000011C9C: 0B2726FA FF00FFF8
	v_mul_f32_dpp v148, v249, v148 quad_perm:[0,0,0,0] row_mask:0xf bank_mask:0xf// 000000011CA4: 0B2928FA FF0000F9
	v_mul_f32_dpp v149, v249, v149 quad_perm:[1,1,1,1] row_mask:0xf bank_mask:0xf// 000000011CAC: 0B2B2AFA FF0055F9
	v_mul_f32_dpp v150, v249, v150 quad_perm:[2,2,2,2] row_mask:0xf bank_mask:0xf// 000000011CB4: 0B2D2CFA FF00AAF9
	v_mul_f32_dpp v151, v249, v151 quad_perm:[3,3,3,3] row_mask:0xf bank_mask:0xf// 000000011CBC: 0B2F2EFA FF00FFF9
	v_mul_f32_dpp v152, v250, v152 quad_perm:[0,0,0,0] row_mask:0xf bank_mask:0xf// 000000011CC4: 0B3130FA FF0000FA
	v_mul_f32_dpp v153, v250, v153 quad_perm:[1,1,1,1] row_mask:0xf bank_mask:0xf// 000000011CCC: 0B3332FA FF0055FA
	v_mul_f32_dpp v154, v250, v154 quad_perm:[2,2,2,2] row_mask:0xf bank_mask:0xf// 000000011CD4: 0B3534FA FF00AAFA
	v_mul_f32_dpp v155, v250, v155 quad_perm:[3,3,3,3] row_mask:0xf bank_mask:0xf// 000000011CDC: 0B3736FA FF00FFFA
	v_mul_f32_dpp v156, v251, v156 quad_perm:[0,0,0,0] row_mask:0xf bank_mask:0xf// 000000011CE4: 0B3938FA FF0000FB
	v_mul_f32_dpp v157, v251, v157 quad_perm:[1,1,1,1] row_mask:0xf bank_mask:0xf// 000000011CEC: 0B3B3AFA FF0055FB
	v_mul_f32_dpp v158, v251, v158 quad_perm:[2,2,2,2] row_mask:0xf bank_mask:0xf// 000000011CF4: 0B3D3CFA FF00AAFB
	v_mul_f32_dpp v159, v251, v159 quad_perm:[3,3,3,3] row_mask:0xf bank_mask:0xf// 000000011CFC: 0B3F3EFA FF00FFFB
	s_cmp_le_i32 s90, s89                                      // 000000011D04: BF05595A
	s_cbranch_scc1 label_3F36                                  // 000000011D08: BF850073
	v_mov_b32_e32 v69, 0xff800000                              // 000000011D0C: 7E8A02FF FF800000
	s_mov_b32 s60, s90                                         // 000000011D14: BEBC005A
	s_add_u32 s61, s89, 0xff                                   // 000000011D18: 803DFF59 000000FF
	v_mov_b32_e32 v41, s61                                     // 000000011D20: 7E52023D
	v_lshrrev_b32_e32 v240, 4, v0                              // 000000011D24: 21E00084
	v_mul_i32_i24_e32 v240, 4, v240                            // 000000011D28: 0DE1E084
	v_add_u32_e32 v240, s60, v240                              // 000000011D2C: 69E1E03C
	v_and_b32_e32 v42, 15, v0                                  // 000000011D30: 2654008F
	v_lshrrev_b32_e32 v42, 3, v42                              // 000000011D34: 20545483
	s_mov_b32 s61, 2                                           // 000000011D38: BEBD0082
	s_mul_i32 s60, 16, s7                                      // 000000011D3C: 923C0790
	v_add_u32_e32 v42, s61, v42                                // 000000011D40: 6854543D
	v_sub_u32_e32 v240, v240, v42                              // 000000011D44: 6BE055F0
	v_add_u32_e32 v240, s60, v240                              // 000000011D48: 69E1E03C
	v_add_u32_e32 v241, 1, v240                                // 000000011D4C: 69E3E081
	v_add_u32_e32 v242, 2, v240                                // 000000011D50: 69E5E082
	v_add_u32_e32 v243, 3, v240                                // 000000011D54: 69E7E083
	v_cmp_le_u32_e64 s[40:41], v240, v41                       // 000000011D58: D0CB0028 000253F0
	v_add_u32_e32 v240, 64, v240                               // 000000011D60: 69E1E0C0
	s_nop 0                                                    // 000000011D64: BF800000
	v_cndmask_b32_e64 v144, v69, v144, s[40:41]                // 000000011D68: D1000090 00A32145
	v_cmp_le_u32_e64 s[40:41], v241, v41                       // 000000011D70: D0CB0028 000253F1
	v_add_u32_e32 v241, 64, v241                               // 000000011D78: 69E3E2C0
	s_nop 0                                                    // 000000011D7C: BF800000
	v_cndmask_b32_e64 v145, v69, v145, s[40:41]                // 000000011D80: D1000091 00A32345
	v_cmp_le_u32_e64 s[40:41], v242, v41                       // 000000011D88: D0CB0028 000253F2
	v_add_u32_e32 v242, 64, v242                               // 000000011D90: 69E5E4C0
	s_nop 0                                                    // 000000011D94: BF800000
	v_cndmask_b32_e64 v146, v69, v146, s[40:41]                // 000000011D98: D1000092 00A32545
	v_cmp_le_u32_e64 s[40:41], v243, v41                       // 000000011DA0: D0CB0028 000253F3
	v_add_u32_e32 v243, 64, v243                               // 000000011DA8: 69E7E6C0
	s_nop 0                                                    // 000000011DAC: BF800000
	v_cndmask_b32_e64 v147, v69, v147, s[40:41]                // 000000011DB0: D1000093 00A32745
	v_cmp_le_u32_e64 s[40:41], v240, v41                       // 000000011DB8: D0CB0028 000253F0
	v_add_u32_e32 v240, 64, v240                               // 000000011DC0: 69E1E0C0
	s_nop 0                                                    // 000000011DC4: BF800000
	v_cndmask_b32_e64 v148, v69, v148, s[40:41]                // 000000011DC8: D1000094 00A32945
	v_cmp_le_u32_e64 s[40:41], v241, v41                       // 000000011DD0: D0CB0028 000253F1
	v_add_u32_e32 v241, 64, v241                               // 000000011DD8: 69E3E2C0
	s_nop 0                                                    // 000000011DDC: BF800000
	v_cndmask_b32_e64 v149, v69, v149, s[40:41]                // 000000011DE0: D1000095 00A32B45
	v_cmp_le_u32_e64 s[40:41], v242, v41                       // 000000011DE8: D0CB0028 000253F2
	v_add_u32_e32 v242, 64, v242                               // 000000011DF0: 69E5E4C0
	s_nop 0                                                    // 000000011DF4: BF800000
	v_cndmask_b32_e64 v150, v69, v150, s[40:41]                // 000000011DF8: D1000096 00A32D45
	v_cmp_le_u32_e64 s[40:41], v243, v41                       // 000000011E00: D0CB0028 000253F3
	v_add_u32_e32 v243, 64, v243                               // 000000011E08: 69E7E6C0
	s_nop 0                                                    // 000000011E0C: BF800000
	v_cndmask_b32_e64 v151, v69, v151, s[40:41]                // 000000011E10: D1000097 00A32F45
	v_cmp_le_u32_e64 s[40:41], v240, v41                       // 000000011E18: D0CB0028 000253F0
	v_add_u32_e32 v240, 64, v240                               // 000000011E20: 69E1E0C0
	s_nop 0                                                    // 000000011E24: BF800000
	v_cndmask_b32_e64 v152, v69, v152, s[40:41]                // 000000011E28: D1000098 00A33145
	v_cmp_le_u32_e64 s[40:41], v241, v41                       // 000000011E30: D0CB0028 000253F1
	v_add_u32_e32 v241, 64, v241                               // 000000011E38: 69E3E2C0
	s_nop 0                                                    // 000000011E3C: BF800000
	v_cndmask_b32_e64 v153, v69, v153, s[40:41]                // 000000011E40: D1000099 00A33345
	v_cmp_le_u32_e64 s[40:41], v242, v41                       // 000000011E48: D0CB0028 000253F2
	v_add_u32_e32 v242, 64, v242                               // 000000011E50: 69E5E4C0
	s_nop 0                                                    // 000000011E54: BF800000
	v_cndmask_b32_e64 v154, v69, v154, s[40:41]                // 000000011E58: D100009A 00A33545
	v_cmp_le_u32_e64 s[40:41], v243, v41                       // 000000011E60: D0CB0028 000253F3
	v_add_u32_e32 v243, 64, v243                               // 000000011E68: 69E7E6C0
	s_nop 0                                                    // 000000011E6C: BF800000
	v_cndmask_b32_e64 v155, v69, v155, s[40:41]                // 000000011E70: D100009B 00A33745
	v_cmp_le_u32_e64 s[40:41], v240, v41                       // 000000011E78: D0CB0028 000253F0
	v_add_u32_e32 v240, 64, v240                               // 000000011E80: 69E1E0C0
	s_nop 0                                                    // 000000011E84: BF800000
	v_cndmask_b32_e64 v156, v69, v156, s[40:41]                // 000000011E88: D100009C 00A33945
	v_cmp_le_u32_e64 s[40:41], v241, v41                       // 000000011E90: D0CB0028 000253F1
	v_add_u32_e32 v241, 64, v241                               // 000000011E98: 69E3E2C0
	s_nop 0                                                    // 000000011E9C: BF800000
	v_cndmask_b32_e64 v157, v69, v157, s[40:41]                // 000000011EA0: D100009D 00A33B45
	v_cmp_le_u32_e64 s[40:41], v242, v41                       // 000000011EA8: D0CB0028 000253F2
	v_add_u32_e32 v242, 64, v242                               // 000000011EB0: 69E5E4C0
	s_nop 0                                                    // 000000011EB4: BF800000
	v_cndmask_b32_e64 v158, v69, v158, s[40:41]                // 000000011EB8: D100009E 00A33D45
	v_cmp_le_u32_e64 s[40:41], v243, v41                       // 000000011EC0: D0CB0028 000253F3
	v_add_u32_e32 v243, 64, v243                               // 000000011EC8: 69E7E6C0
	s_nop 0                                                    // 000000011ECC: BF800000
	v_cndmask_b32_e64 v159, v69, v159, s[40:41]                // 000000011ED0: D100009F 00A33F45

0000000000011ed8 <label_3F36>:
	s_add_u32 s90, s91, s90                                    // 000000011ED8: 805A5A5B
	s_and_b32 s60, s72, 0xff                                   // 000000011EDC: 863CFF48 000000FF
	v_mov_b32_e32 v42, s60                                     // 000000011EE4: 7E54023C
	v_lshrrev_b32_e32 v240, 4, v0                              // 000000011EE8: 21E00084
	v_mul_i32_i24_e32 v240, 4, v240                            // 000000011EEC: 0DE1E084
	s_mul_i32 s60, s7, 16                                      // 000000011EF0: 923C9007
	v_add_u32_e32 v240, s60, v240                              // 000000011EF4: 69E1E03C
	v_add_u32_e32 v241, 1, v240                                // 000000011EF8: 69E3E081
	v_add_u32_e32 v242, 2, v240                                // 000000011EFC: 69E5E082
	v_add_u32_e32 v243, 3, v240                                // 000000011F00: 69E7E083
	v_mov_b32_e32 v41, 0xff800000                              // 000000011F04: 7E5202FF FF800000
	v_cmp_lt_u32_e64 s[40:41], v240, v42                       // 000000011F0C: D0C90028 000255F0
	v_add_u32_e32 v240, 64, v240                               // 000000011F14: 69E1E0C0
	s_nop 0                                                    // 000000011F18: BF800000
	v_cndmask_b32_e64 v144, v41, v144, s[40:41]                // 000000011F1C: D1000090 00A32129
	v_cmp_lt_u32_e64 s[40:41], v241, v42                       // 000000011F24: D0C90028 000255F1
	v_add_u32_e32 v241, 64, v241                               // 000000011F2C: 69E3E2C0
	s_nop 0                                                    // 000000011F30: BF800000
	v_cndmask_b32_e64 v145, v41, v145, s[40:41]                // 000000011F34: D1000091 00A32329
	v_cmp_lt_u32_e64 s[40:41], v242, v42                       // 000000011F3C: D0C90028 000255F2
	v_add_u32_e32 v242, 64, v242                               // 000000011F44: 69E5E4C0
	s_nop 0                                                    // 000000011F48: BF800000
	v_cndmask_b32_e64 v146, v41, v146, s[40:41]                // 000000011F4C: D1000092 00A32529
	v_cmp_lt_u32_e64 s[40:41], v243, v42                       // 000000011F54: D0C90028 000255F3
	v_add_u32_e32 v243, 64, v243                               // 000000011F5C: 69E7E6C0
	s_nop 0                                                    // 000000011F60: BF800000
	v_cndmask_b32_e64 v147, v41, v147, s[40:41]                // 000000011F64: D1000093 00A32729
	v_cmp_lt_u32_e64 s[40:41], v240, v42                       // 000000011F6C: D0C90028 000255F0
	v_add_u32_e32 v240, 64, v240                               // 000000011F74: 69E1E0C0
	s_nop 0                                                    // 000000011F78: BF800000
	v_cndmask_b32_e64 v148, v41, v148, s[40:41]                // 000000011F7C: D1000094 00A32929
	v_cmp_lt_u32_e64 s[40:41], v241, v42                       // 000000011F84: D0C90028 000255F1
	v_add_u32_e32 v241, 64, v241                               // 000000011F8C: 69E3E2C0
	s_nop 0                                                    // 000000011F90: BF800000
	v_cndmask_b32_e64 v149, v41, v149, s[40:41]                // 000000011F94: D1000095 00A32B29
	v_cmp_lt_u32_e64 s[40:41], v242, v42                       // 000000011F9C: D0C90028 000255F2
	v_add_u32_e32 v242, 64, v242                               // 000000011FA4: 69E5E4C0
	s_nop 0                                                    // 000000011FA8: BF800000
	v_cndmask_b32_e64 v150, v41, v150, s[40:41]                // 000000011FAC: D1000096 00A32D29
	v_cmp_lt_u32_e64 s[40:41], v243, v42                       // 000000011FB4: D0C90028 000255F3
	v_add_u32_e32 v243, 64, v243                               // 000000011FBC: 69E7E6C0
	s_nop 0                                                    // 000000011FC0: BF800000
	v_cndmask_b32_e64 v151, v41, v151, s[40:41]                // 000000011FC4: D1000097 00A32F29
	v_cmp_lt_u32_e64 s[40:41], v240, v42                       // 000000011FCC: D0C90028 000255F0
	v_add_u32_e32 v240, 64, v240                               // 000000011FD4: 69E1E0C0
	s_nop 0                                                    // 000000011FD8: BF800000
	v_cndmask_b32_e64 v152, v41, v152, s[40:41]                // 000000011FDC: D1000098 00A33129
	v_cmp_lt_u32_e64 s[40:41], v241, v42                       // 000000011FE4: D0C90028 000255F1
	v_add_u32_e32 v241, 64, v241                               // 000000011FEC: 69E3E2C0
	s_nop 0                                                    // 000000011FF0: BF800000
	v_cndmask_b32_e64 v153, v41, v153, s[40:41]                // 000000011FF4: D1000099 00A33329
	v_cmp_lt_u32_e64 s[40:41], v242, v42                       // 000000011FFC: D0C90028 000255F2
	v_add_u32_e32 v242, 64, v242                               // 000000012004: 69E5E4C0
	s_nop 0                                                    // 000000012008: BF800000
	v_cndmask_b32_e64 v154, v41, v154, s[40:41]                // 00000001200C: D100009A 00A33529
	v_cmp_lt_u32_e64 s[40:41], v243, v42                       // 000000012014: D0C90028 000255F3
	v_add_u32_e32 v243, 64, v243                               // 00000001201C: 69E7E6C0
	s_nop 0                                                    // 000000012020: BF800000
	v_cndmask_b32_e64 v155, v41, v155, s[40:41]                // 000000012024: D100009B 00A33729
	v_cmp_lt_u32_e64 s[40:41], v240, v42                       // 00000001202C: D0C90028 000255F0
	v_add_u32_e32 v240, 64, v240                               // 000000012034: 69E1E0C0
	s_nop 0                                                    // 000000012038: BF800000
	v_cndmask_b32_e64 v156, v41, v156, s[40:41]                // 00000001203C: D100009C 00A33929
	v_cmp_lt_u32_e64 s[40:41], v241, v42                       // 000000012044: D0C90028 000255F1
	v_add_u32_e32 v241, 64, v241                               // 00000001204C: 69E3E2C0
	s_nop 0                                                    // 000000012050: BF800000
	v_cndmask_b32_e64 v157, v41, v157, s[40:41]                // 000000012054: D100009D 00A33B29
	v_cmp_lt_u32_e64 s[40:41], v242, v42                       // 00000001205C: D0C90028 000255F2
	v_add_u32_e32 v242, 64, v242                               // 000000012064: 69E5E4C0
	s_nop 0                                                    // 000000012068: BF800000
	v_cndmask_b32_e64 v158, v41, v158, s[40:41]                // 00000001206C: D100009E 00A33D29
	v_cmp_lt_u32_e64 s[40:41], v243, v42                       // 000000012074: D0C90028 000255F3
	v_add_u32_e32 v243, 64, v243                               // 00000001207C: 69E7E6C0
	s_nop 0                                                    // 000000012080: BF800000
	v_cndmask_b32_e64 v159, v41, v159, s[40:41]                // 000000012084: D100009F 00A33F29
	v_mov_b32_e32 v62, v144                                    // 00000001208C: 7E7C0390
	v_max3_f32 v62, v144, v145, v62                            // 000000012090: D1D3003E 04FB2390
	v_max3_f32 v62, v146, v147, v62                            // 000000012098: D1D3003E 04FB2792
	v_max3_f32 v62, v148, v149, v62                            // 0000000120A0: D1D3003E 04FB2B94
	v_max3_f32 v62, v150, v151, v62                            // 0000000120A8: D1D3003E 04FB2F96
	v_max3_f32 v62, v152, v153, v62                            // 0000000120B0: D1D3003E 04FB3398
	v_max3_f32 v62, v154, v155, v62                            // 0000000120B8: D1D3003E 04FB379A
	v_max3_f32 v62, v156, v157, v62                            // 0000000120C0: D1D3003E 04FB3B9C
	v_max3_f32 v62, v158, v159, v62                            // 0000000120C8: D1D3003E 04FB3F9E
	ds_write_b32 v11, v62 offset:16896                         // 0000000120D0: D81A4200 00003E0B
	v_mul_f32_e32 v232, v64, v232                              // 0000000120D8: 0BD1D140
	v_mul_f32_e32 v233, v64, v233                              // 0000000120DC: 0BD3D340
	v_mul_f32_e32 v234, v64, v234                              // 0000000120E0: 0BD5D540
	v_mul_f32_e32 v235, v64, v235                              // 0000000120E4: 0BD7D740
	v_mul_f32_e32 v236, v64, v236                              // 0000000120E8: 0BD9D940
	v_mul_f32_e32 v237, v64, v237                              // 0000000120EC: 0BDBDB40
	v_mul_f32_e32 v238, v64, v238                              // 0000000120F0: 0BDDDD40
	v_mul_f32_e32 v239, v64, v239                              // 0000000120F4: 0BDFDF40
	s_waitcnt lgkmcnt(0)                                       // 0000000120F8: BF8CC07F
	s_barrier                                                  // 0000000120FC: BF8A0000
	ds_read_b32 v80, v10 offset:16896                          // 000000012100: D86C4200 5000000A
	ds_read_b32 v81, v10 offset:16960                          // 000000012108: D86C4240 5100000A
	ds_read_b32 v82, v10 offset:17024                          // 000000012110: D86C4280 5200000A
	ds_read_b32 v83, v10 offset:17088                          // 000000012118: D86C42C0 5300000A
	ds_read_b32 v84, v10 offset:17152                          // 000000012120: D86C4300 5400000A
	ds_read_b32 v85, v10 offset:17216                          // 000000012128: D86C4340 5500000A
	ds_read_b32 v86, v10 offset:17280                          // 000000012130: D86C4380 5600000A
	ds_read_b32 v87, v10 offset:17344                          // 000000012138: D86C43C0 5700000A
	ds_read_b32 v88, v10 offset:17408                          // 000000012140: D86C4400 5800000A
	ds_read_b32 v89, v10 offset:17472                          // 000000012148: D86C4440 5900000A
	ds_read_b32 v90, v10 offset:17536                          // 000000012150: D86C4480 5A00000A
	ds_read_b32 v91, v10 offset:17600                          // 000000012158: D86C44C0 5B00000A
	ds_read_b32 v92, v10 offset:17664                          // 000000012160: D86C4500 5C00000A
	ds_read_b32 v93, v10 offset:17728                          // 000000012168: D86C4540 5D00000A
	ds_read_b32 v94, v10 offset:17792                          // 000000012170: D86C4580 5E00000A
	ds_read_b32 v95, v10 offset:17856                          // 000000012178: D86C45C0 5F00000A
	v_cvt_f32_i32_e32 v200, v200                               // 000000012180: 7F900BC8
	v_cvt_f32_i32_e32 v201, v201                               // 000000012184: 7F920BC9
	v_cvt_f32_i32_e32 v202, v202                               // 000000012188: 7F940BCA
	v_cvt_f32_i32_e32 v203, v203                               // 00000001218C: 7F960BCB
	v_cvt_f32_i32_e32 v204, v204                               // 000000012190: 7F980BCC
	v_cvt_f32_i32_e32 v205, v205                               // 000000012194: 7F9A0BCD
	v_cvt_f32_i32_e32 v206, v206                               // 000000012198: 7F9C0BCE
	v_cvt_f32_i32_e32 v207, v207                               // 00000001219C: 7F9E0BCF
	v_mul_f32_e32 v200, v59, v200                              // 0000000121A0: 0B91913B
	v_mul_f32_e32 v201, v59, v201                              // 0000000121A4: 0B93933B
	v_mul_f32_e32 v202, v59, v202                              // 0000000121A8: 0B95953B
	v_mul_f32_e32 v203, v59, v203                              // 0000000121AC: 0B97973B
	v_mul_f32_e32 v204, v59, v204                              // 0000000121B0: 0B99993B
	v_mul_f32_e32 v205, v59, v205                              // 0000000121B4: 0B9B9B3B
	v_mul_f32_e32 v206, v59, v206                              // 0000000121B8: 0B9D9D3B
	v_mul_f32_e32 v207, v59, v207                              // 0000000121BC: 0B9F9F3B
	s_waitcnt lgkmcnt(0)                                       // 0000000121C0: BF8CC07F
	v_max3_f32 v62, v80, v81, v62                              // 0000000121C4: D1D3003E 04FAA350
	v_max3_f32 v62, v82, v83, v62                              // 0000000121CC: D1D3003E 04FAA752
	v_max3_f32 v62, v84, v85, v62                              // 0000000121D4: D1D3003E 04FAAB54
	v_max3_f32 v62, v86, v87, v62                              // 0000000121DC: D1D3003E 04FAAF56
	v_max3_f32 v62, v88, v89, v62                              // 0000000121E4: D1D3003E 04FAB358
	v_max3_f32 v62, v90, v91, v62                              // 0000000121EC: D1D3003E 04FAB75A
	v_max3_f32 v62, v92, v93, v62                              // 0000000121F4: D1D3003E 04FABB5C
	v_max3_f32 v62, v94, v95, v62                              // 0000000121FC: D1D3003E 04FABF5E
	v_mov_b32_e32 v41, 0xff800000                              // 000000012204: 7E5202FF FF800000
	v_cmp_eq_u32_e64 s[40:41], v41, v15                        // 00000001220C: D0CA0028 00021F29
	s_nop 1                                                    // 000000012214: BF800001
	v_max_f32_e32 v18, v62, v15                                // 000000012218: 16241F3E
	v_mul_f32_e32 v67, s64, v18                                // 00000001221C: 0A862440
	v_fma_f32 v144, v144, s64, -v67                            // 000000012220: D1CB0090 850C8190
	v_fma_f32 v145, v145, s64, -v67                            // 000000012228: D1CB0091 850C8191
	v_fma_f32 v146, v146, s64, -v67                            // 000000012230: D1CB0092 850C8192
	v_fma_f32 v147, v147, s64, -v67                            // 000000012238: D1CB0093 850C8193
	v_fma_f32 v148, v148, s64, -v67                            // 000000012240: D1CB0094 850C8194
	v_fma_f32 v149, v149, s64, -v67                            // 000000012248: D1CB0095 850C8195
	v_fma_f32 v150, v150, s64, -v67                            // 000000012250: D1CB0096 850C8196
	v_fma_f32 v151, v151, s64, -v67                            // 000000012258: D1CB0097 850C8197
	v_fma_f32 v152, v152, s64, -v67                            // 000000012260: D1CB0098 850C8198
	v_fma_f32 v153, v153, s64, -v67                            // 000000012268: D1CB0099 850C8199
	v_fma_f32 v154, v154, s64, -v67                            // 000000012270: D1CB009A 850C819A
	v_fma_f32 v155, v155, s64, -v67                            // 000000012278: D1CB009B 850C819B
	v_fma_f32 v156, v156, s64, -v67                            // 000000012280: D1CB009C 850C819C
	v_fma_f32 v157, v157, s64, -v67                            // 000000012288: D1CB009D 850C819D
	v_fma_f32 v158, v158, s64, -v67                            // 000000012290: D1CB009E 850C819E
	v_fma_f32 v159, v159, s64, -v67                            // 000000012298: D1CB009F 850C819F
	v_exp_f32_e32 v144, v144                                   // 0000000122A0: 7F204190
	v_exp_f32_e32 v145, v145                                   // 0000000122A4: 7F224191
	v_exp_f32_e32 v146, v146                                   // 0000000122A8: 7F244192
	v_exp_f32_e32 v147, v147                                   // 0000000122AC: 7F264193
	v_exp_f32_e32 v148, v148                                   // 0000000122B0: 7F284194
	v_exp_f32_e32 v149, v149                                   // 0000000122B4: 7F2A4195
	v_exp_f32_e32 v150, v150                                   // 0000000122B8: 7F2C4196
	v_exp_f32_e32 v151, v151                                   // 0000000122BC: 7F2E4197
	v_exp_f32_e32 v152, v152                                   // 0000000122C0: 7F304198
	v_exp_f32_e32 v153, v153                                   // 0000000122C4: 7F324199
	v_exp_f32_e32 v154, v154                                   // 0000000122C8: 7F34419A
	v_exp_f32_e32 v155, v155                                   // 0000000122CC: 7F36419B
	v_exp_f32_e32 v156, v156                                   // 0000000122D0: 7F38419C
	v_exp_f32_e32 v157, v157                                   // 0000000122D4: 7F3A419D
	v_exp_f32_e32 v158, v158                                   // 0000000122D8: 7F3C419E
	v_exp_f32_e32 v159, v159                                   // 0000000122DC: 7F3E419F
	v_mul_f32_dpp v240, v252, v144 quad_perm:[0,0,0,0] row_mask:0xf bank_mask:0xf// 0000000122E0: 0BE120FA FF0000FC
	v_mul_f32_dpp v241, v252, v145 quad_perm:[1,1,1,1] row_mask:0xf bank_mask:0xf// 0000000122E8: 0BE322FA FF0055FC
	v_mul_f32_dpp v242, v252, v146 quad_perm:[2,2,2,2] row_mask:0xf bank_mask:0xf// 0000000122F0: 0BE524FA FF00AAFC
	v_mul_f32_dpp v243, v252, v147 quad_perm:[3,3,3,3] row_mask:0xf bank_mask:0xf// 0000000122F8: 0BE726FA FF00FFFC
	v_mul_f32_dpp v244, v253, v148 quad_perm:[0,0,0,0] row_mask:0xf bank_mask:0xf// 000000012300: 0BE928FA FF0000FD
	v_mul_f32_dpp v245, v253, v149 quad_perm:[1,1,1,1] row_mask:0xf bank_mask:0xf// 000000012308: 0BEB2AFA FF0055FD
	v_mul_f32_dpp v246, v253, v150 quad_perm:[2,2,2,2] row_mask:0xf bank_mask:0xf// 000000012310: 0BED2CFA FF00AAFD
	v_mul_f32_dpp v247, v253, v151 quad_perm:[3,3,3,3] row_mask:0xf bank_mask:0xf// 000000012318: 0BEF2EFA FF00FFFD
	v_mul_f32_dpp v248, v254, v152 quad_perm:[0,0,0,0] row_mask:0xf bank_mask:0xf// 000000012320: 0BF130FA FF0000FE
	v_mul_f32_dpp v249, v254, v153 quad_perm:[1,1,1,1] row_mask:0xf bank_mask:0xf// 000000012328: 0BF332FA FF0055FE
	v_mul_f32_dpp v250, v254, v154 quad_perm:[2,2,2,2] row_mask:0xf bank_mask:0xf// 000000012330: 0BF534FA FF00AAFE
	v_mul_f32_dpp v251, v254, v155 quad_perm:[3,3,3,3] row_mask:0xf bank_mask:0xf// 000000012338: 0BF736FA FF00FFFE
	v_mul_f32_dpp v252, v255, v156 quad_perm:[0,0,0,0] row_mask:0xf bank_mask:0xf// 000000012340: 0BF938FA FF0000FF
	v_mul_f32_dpp v253, v255, v157 quad_perm:[1,1,1,1] row_mask:0xf bank_mask:0xf// 000000012348: 0BFB3AFA FF0055FF
	v_mul_f32_dpp v254, v255, v158 quad_perm:[2,2,2,2] row_mask:0xf bank_mask:0xf// 000000012350: 0BFD3CFA FF00AAFF
	v_mul_f32_dpp v255, v255, v159 quad_perm:[3,3,3,3] row_mask:0xf bank_mask:0xf// 000000012358: 0BFF3EFA FF00FFFF
	v_mov_b32_e32 v62, 0x358637bd                              // 000000012360: 7E7C02FF 358637BD
	v_max3_f32 v62, |v240|, |v241|, v62                        // 000000012368: D1D3033E 04FBE3F0
	v_max3_f32 v62, |v242|, |v243|, v62                        // 000000012370: D1D3033E 04FBE7F2
	v_max3_f32 v62, |v244|, |v245|, v62                        // 000000012378: D1D3033E 04FBEBF4
	v_max3_f32 v62, |v246|, |v247|, v62                        // 000000012380: D1D3033E 04FBEFF6
	v_max3_f32 v62, |v248|, |v249|, v62                        // 000000012388: D1D3033E 04FBF3F8
	v_max3_f32 v62, |v250|, |v251|, v62                        // 000000012390: D1D3033E 04FBF7FA
	v_max3_f32 v62, |v252|, |v253|, v62                        // 000000012398: D1D3033E 04FBFBFC
	v_max3_f32 v62, |v254|, |v255|, v62                        // 0000000123A0: D1D3033E 04FBFFFE
	ds_write_b32 v11, v62 offset:20992                         // 0000000123A8: D81A5200 00003E0B
	v_sub_f32_e32 v64, v15, v18                                // 0000000123B0: 0480250F
	v_cndmask_b32_e64 v64, v64, 0, s[40:41]                    // 0000000123B4: D1000040 00A10140
	v_mov_b32_e32 v15, v18                                     // 0000000123BC: 7E1E0312
	v_mul_f32_e32 v64, s64, v64                                // 0000000123C0: 0A808040
	v_exp_f32_e32 v64, v64                                     // 0000000123C4: 7E804140
	s_waitcnt lgkmcnt(0)                                       // 0000000123C8: BF8CC07F
	s_barrier                                                  // 0000000123CC: BF8A0000
	ds_read_b32 v80, v10 offset:20992                          // 0000000123D0: D86C5200 5000000A
	ds_read_b32 v81, v10 offset:21056                          // 0000000123D8: D86C5240 5100000A
	ds_read_b32 v82, v10 offset:21120                          // 0000000123E0: D86C5280 5200000A
	ds_read_b32 v83, v10 offset:21184                          // 0000000123E8: D86C52C0 5300000A
	ds_read_b32 v84, v10 offset:21248                          // 0000000123F0: D86C5300 5400000A
	ds_read_b32 v85, v10 offset:21312                          // 0000000123F8: D86C5340 5500000A
	ds_read_b32 v86, v10 offset:21376                          // 000000012400: D86C5380 5600000A
	ds_read_b32 v87, v10 offset:21440                          // 000000012408: D86C53C0 5700000A
	ds_read_b32 v88, v10 offset:21504                          // 000000012410: D86C5400 5800000A
	ds_read_b32 v89, v10 offset:21568                          // 000000012418: D86C5440 5900000A
	ds_read_b32 v90, v10 offset:21632                          // 000000012420: D86C5480 5A00000A
	ds_read_b32 v91, v10 offset:21696                          // 000000012428: D86C54C0 5B00000A
	ds_read_b32 v92, v10 offset:21760                          // 000000012430: D86C5500 5C00000A
	ds_read_b32 v93, v10 offset:21824                          // 000000012438: D86C5540 5D00000A
	ds_read_b32 v94, v10 offset:21888                          // 000000012440: D86C5580 5E00000A
	ds_read_b32 v95, v10 offset:21952                          // 000000012448: D86C55C0 5F00000A
	v_mul_f32_e32 v48, v64, v48                                // 000000012450: 0A606140
	v_mov_b32_e32 v18, v144                                    // 000000012454: 7E240390
	v_add_f32_e32 v18, v145, v18                               // 000000012458: 02242591
	v_add_f32_e32 v18, v146, v18                               // 00000001245C: 02242592
	v_add_f32_e32 v18, v147, v18                               // 000000012460: 02242593
	v_add_f32_e32 v18, v148, v18                               // 000000012464: 02242594
	;; [unrolled: 1-line block ×3, first 2 shown]
	v_add_f32_e32 v18, v150, v18                               // 00000001246C: 02242596
	v_add_f32_e32 v18, v151, v18                               // 000000012470: 02242597
	v_add_f32_e32 v18, v152, v18                               // 000000012474: 02242598
	;; [unrolled: 1-line block ×3, first 2 shown]
	v_add_f32_e32 v18, v154, v18                               // 00000001247C: 0224259A
	v_add_f32_e32 v18, v155, v18                               // 000000012480: 0224259B
	v_add_f32_e32 v18, v156, v18                               // 000000012484: 0224259C
	v_add_f32_e32 v18, v157, v18                               // 000000012488: 0224259D
	v_add_f32_e32 v18, v158, v18                               // 00000001248C: 0224259E
	v_add_f32_e32 v18, v159, v18                               // 000000012490: 0224259F
	v_add_f32_e32 v48, v18, v48                                // 000000012494: 02606112
	s_waitcnt lgkmcnt(0)                                       // 000000012498: BF8CC07F
	v_max3_f32 v62, |v80|, |v81|, v62                          // 00000001249C: D1D3033E 04FAA350
	v_max3_f32 v62, |v82|, |v83|, v62                          // 0000000124A4: D1D3033E 04FAA752
	v_max3_f32 v62, |v84|, |v85|, v62                          // 0000000124AC: D1D3033E 04FAAB54
	v_max3_f32 v62, |v86|, |v87|, v62                          // 0000000124B4: D1D3033E 04FAAF56
	v_max3_f32 v62, |v88|, |v89|, v62                          // 0000000124BC: D1D3033E 04FAB358
	v_max3_f32 v62, |v90|, |v91|, v62                          // 0000000124C4: D1D3033E 04FAB75A
	v_max3_f32 v62, |v92|, |v93|, v62                          // 0000000124CC: D1D3033E 04FABB5C
	v_max3_f32 v62, |v94|, |v95|, v62                          // 0000000124D4: D1D3033E 04FABF5E
	s_nop 2                                                    // 0000000124DC: BF800002
	v_rcp_f32_e32 v62, v62                                     // 0000000124E0: 7E7C453E
	s_nop 1                                                    // 0000000124E4: BF800001
	v_mul_f32_e32 v62, 0x42fe0000, v62                         // 0000000124E8: 0A7C7CFF 42FE0000
	v_mul_f32_e32 v144, v62, v240                              // 0000000124F0: 0B21E13E
	v_mul_f32_e32 v145, v62, v241                              // 0000000124F4: 0B23E33E
	v_mul_f32_e32 v146, v62, v242                              // 0000000124F8: 0B25E53E
	v_mul_f32_e32 v147, v62, v243                              // 0000000124FC: 0B27E73E
	v_mul_f32_e32 v148, v62, v244                              // 000000012500: 0B29E93E
	v_mul_f32_e32 v149, v62, v245                              // 000000012504: 0B2BEB3E
	v_mul_f32_e32 v150, v62, v246                              // 000000012508: 0B2DED3E
	v_mul_f32_e32 v151, v62, v247                              // 00000001250C: 0B2FEF3E
	v_mul_f32_e32 v152, v62, v248                              // 000000012510: 0B31F13E
	v_mul_f32_e32 v153, v62, v249                              // 000000012514: 0B33F33E
	v_mul_f32_e32 v154, v62, v250                              // 000000012518: 0B35F53E
	v_mul_f32_e32 v155, v62, v251                              // 00000001251C: 0B37F73E
	v_mul_f32_e32 v156, v62, v252                              // 000000012520: 0B39F93E
	v_mul_f32_e32 v157, v62, v253                              // 000000012524: 0B3BFB3E
	v_mul_f32_e32 v158, v62, v254                              // 000000012528: 0B3DFD3E
	v_mul_f32_e32 v159, v62, v255                              // 00000001252C: 0B3FFF3E
	v_cvt_i32_f32_e32 v144, v144                               // 000000012530: 7F201190
	v_cvt_i32_f32_e32 v145, v145                               // 000000012534: 7F221191
	v_cvt_i32_f32_e32 v146, v146                               // 000000012538: 7F241192
	v_cvt_i32_f32_e32 v147, v147                               // 00000001253C: 7F261193
	v_cvt_i32_f32_e32 v148, v148                               // 000000012540: 7F281194
	v_cvt_i32_f32_e32 v149, v149                               // 000000012544: 7F2A1195
	v_cvt_i32_f32_e32 v150, v150                               // 000000012548: 7F2C1196
	v_cvt_i32_f32_e32 v151, v151                               // 00000001254C: 7F2E1197
	v_cvt_i32_f32_e32 v152, v152                               // 000000012550: 7F301198
	v_cvt_i32_f32_e32 v153, v153                               // 000000012554: 7F321199
	v_cvt_i32_f32_e32 v154, v154                               // 000000012558: 7F34119A
	v_cvt_i32_f32_e32 v155, v155                               // 00000001255C: 7F36119B
	v_cvt_i32_f32_e32 v156, v156                               // 000000012560: 7F38119C
	v_cvt_i32_f32_e32 v157, v157                               // 000000012564: 7F3A119D
	v_cvt_i32_f32_e32 v158, v158                               // 000000012568: 7F3C119E
	v_cvt_i32_f32_e32 v159, v159                               // 00000001256C: 7F3E119F
	v_perm_b32 v144, v145, v144, s53                           // 000000012570: D1ED0090 00D72191
	v_perm_b32 v144, v146, v144, s54                           // 000000012578: D1ED0090 00DB2192
	v_perm_b32 v144, v147, v144, s55                           // 000000012580: D1ED0090 00DF2193
	v_perm_b32 v145, v149, v148, s53                           // 000000012588: D1ED0091 00D72995
	v_perm_b32 v145, v150, v145, s54                           // 000000012590: D1ED0091 00DB2396
	v_perm_b32 v145, v151, v145, s55                           // 000000012598: D1ED0091 00DF2397
	v_perm_b32 v146, v153, v152, s53                           // 0000000125A0: D1ED0092 00D73199
	v_perm_b32 v146, v154, v146, s54                           // 0000000125A8: D1ED0092 00DB259A
	v_perm_b32 v146, v155, v146, s55                           // 0000000125B0: D1ED0092 00DF259B
	v_perm_b32 v147, v157, v156, s53                           // 0000000125B8: D1ED0093 00D7399D
	v_perm_b32 v147, v158, v147, s54                           // 0000000125C0: D1ED0093 00DB279E
	v_perm_b32 v147, v159, v147, s55                           // 0000000125C8: D1ED0093 00DF279F
	ds_write_b32 v13, v144 offset:29184                        // 0000000125D0: D81A7200 0000900D
	ds_write_b32 v13, v145 offset:30208                        // 0000000125D8: D81A7600 0000910D
	ds_write_b32 v13, v146 offset:31232                        // 0000000125E0: D81A7A00 0000920D
	ds_write_b32 v13, v147 offset:32256                        // 0000000125E8: D81A7E00 0000930D
	v_add_f32_e32 v232, v232, v200                             // 0000000125F0: 03D191E8
	v_add_f32_e32 v233, v233, v201                             // 0000000125F4: 03D393E9
	v_add_f32_e32 v234, v234, v202                             // 0000000125F8: 03D595EA
	v_add_f32_e32 v235, v235, v203                             // 0000000125FC: 03D797EB
	v_add_f32_e32 v236, v236, v204                             // 000000012600: 03D999EC
	v_add_f32_e32 v237, v237, v205                             // 000000012604: 03DB9BED
	v_add_f32_e32 v238, v238, v206                             // 000000012608: 03DD9DEE
	v_add_f32_e32 v239, v239, v207                             // 00000001260C: 03DF9FEF
	v_rcp_f32_e32 v59, v62                                     // 000000012610: 7E76453E
	s_waitcnt lgkmcnt(0)                                       // 000000012614: BF8CC07F
	s_barrier                                                  // 000000012618: BF8A0000
	ds_read_b64 v[144:145], v12 offset:29184                   // 00000001261C: D8EC7200 9000000C
	ds_read_b64 v[146:147], v12 offset:29312                   // 000000012624: D8EC7280 9200000C
	ds_read_b64 v[148:149], v12 offset:30208                   // 00000001262C: D8EC7600 9400000C
	ds_read_b64 v[150:151], v12 offset:30336                   // 000000012634: D8EC7680 9600000C
	ds_read_b64 v[152:153], v12 offset:31232                   // 00000001263C: D8EC7A00 9800000C
	ds_read_b64 v[154:155], v12 offset:31360                   // 000000012644: D8EC7A80 9A00000C
	ds_read_b64 v[156:157], v12 offset:32256                   // 00000001264C: D8EC7E00 9C00000C
	ds_read_b64 v[158:159], v12 offset:32384                   // 000000012654: D8EC7E80 9E00000C
	s_waitcnt vmcnt(0)                                         // 00000001265C: BF8C0F70
	s_barrier                                                  // 000000012660: BF8A0000
	v_mfma_i32_16x16x32_i8 v[192:195], a[64:65], v[128:129], 0 // 000000012664: D3D700C0 0A030140
	v_mfma_i32_16x16x32_i8 v[192:195], a[66:67], v[130:131], v[192:195]// 00000001266C: D3D700C0 0F030542
	v_mfma_i32_16x16x32_i8 v[192:195], a[68:69], v[132:133], v[192:195]// 000000012674: D3D700C0 0F030944
	v_mfma_i32_16x16x32_i8 v[192:195], a[70:71], v[134:135], v[192:195]// 00000001267C: D3D700C0 0F030D46
	v_mfma_i32_16x16x32_i8 v[192:195], a[72:73], v[136:137], v[192:195]// 000000012684: D3D700C0 0F031148
	v_mfma_i32_16x16x32_i8 v[192:195], a[74:75], v[138:139], v[192:195]// 00000001268C: D3D700C0 0F03154A
	v_mfma_i32_16x16x32_i8 v[192:195], a[76:77], v[140:141], v[192:195]// 000000012694: D3D700C0 0F03194C
	v_mfma_i32_16x16x32_i8 v[192:195], a[78:79], v[142:143], v[192:195]// 00000001269C: D3D700C0 0F031D4E
	v_mfma_i32_16x16x32_i8 v[196:199], a[80:81], v[128:129], 0 // 0000000126A4: D3D700C4 0A030150
	v_mfma_i32_16x16x32_i8 v[196:199], a[82:83], v[130:131], v[196:199]// 0000000126AC: D3D700C4 0F130552
	v_mfma_i32_16x16x32_i8 v[196:199], a[84:85], v[132:133], v[196:199]// 0000000126B4: D3D700C4 0F130954
	v_mfma_i32_16x16x32_i8 v[196:199], a[86:87], v[134:135], v[196:199]// 0000000126BC: D3D700C4 0F130D56
	v_mfma_i32_16x16x32_i8 v[196:199], a[88:89], v[136:137], v[196:199]// 0000000126C4: D3D700C4 0F131158
	v_mfma_i32_16x16x32_i8 v[196:199], a[90:91], v[138:139], v[196:199]// 0000000126CC: D3D700C4 0F13155A
	v_mfma_i32_16x16x32_i8 v[196:199], a[92:93], v[140:141], v[196:199]// 0000000126D4: D3D700C4 0F13195C
	v_mfma_i32_16x16x32_i8 v[196:199], a[94:95], v[142:143], v[196:199]// 0000000126DC: D3D700C4 0F131D5E
	v_mfma_i32_16x16x32_i8 v[200:203], a[64:65], v[144:145], 0 // 0000000126E4: D3D700C8 0A032140
	v_mfma_i32_16x16x32_i8 v[200:203], a[66:67], v[146:147], v[200:203]// 0000000126EC: D3D700C8 0F232542
	v_mfma_i32_16x16x32_i8 v[200:203], a[68:69], v[148:149], v[200:203]// 0000000126F4: D3D700C8 0F232944
	v_mfma_i32_16x16x32_i8 v[200:203], a[70:71], v[150:151], v[200:203]// 0000000126FC: D3D700C8 0F232D46
	v_mfma_i32_16x16x32_i8 v[200:203], a[72:73], v[152:153], v[200:203]// 000000012704: D3D700C8 0F233148
	v_mfma_i32_16x16x32_i8 v[200:203], a[74:75], v[154:155], v[200:203]// 00000001270C: D3D700C8 0F23354A
	v_mfma_i32_16x16x32_i8 v[200:203], a[76:77], v[156:157], v[200:203]// 000000012714: D3D700C8 0F23394C
	v_mfma_i32_16x16x32_i8 v[200:203], a[78:79], v[158:159], v[200:203]// 00000001271C: D3D700C8 0F233D4E
	v_mfma_i32_16x16x32_i8 v[204:207], a[80:81], v[144:145], 0 // 000000012724: D3D700CC 0A032150
	v_mfma_i32_16x16x32_i8 v[204:207], a[82:83], v[146:147], v[204:207]// 00000001272C: D3D700CC 0F332552
	v_mfma_i32_16x16x32_i8 v[204:207], a[84:85], v[148:149], v[204:207]// 000000012734: D3D700CC 0F332954
	v_mfma_i32_16x16x32_i8 v[204:207], a[86:87], v[150:151], v[204:207]// 00000001273C: D3D700CC 0F332D56
	v_mfma_i32_16x16x32_i8 v[204:207], a[88:89], v[152:153], v[204:207]// 000000012744: D3D700CC 0F333158
	v_mfma_i32_16x16x32_i8 v[204:207], a[90:91], v[154:155], v[204:207]// 00000001274C: D3D700CC 0F33355A
	v_mfma_i32_16x16x32_i8 v[204:207], a[92:93], v[156:157], v[204:207]// 000000012754: D3D700CC 0F33395C
	v_mfma_i32_16x16x32_i8 v[204:207], a[94:95], v[158:159], v[204:207]// 00000001275C: D3D700CC 0F333D5E
	s_nop 4                                                    // 000000012764: BF800004
	s_branch label_4780                                        // 000000012768: BF820625

000000000001276c <label_415B>:
	s_waitcnt vmcnt(8) lgkmcnt(0)                              // 00000001276C: BF8C0078
	s_barrier                                                  // 000000012770: BF8A0000
	v_mfma_i32_16x16x32_i8 v[128:131], a[32:33], v[96:97], 0   // 000000012774: D3D70080 0A02C120
	v_mfma_i32_16x16x32_i8 v[128:131], a[34:35], v[98:99], v[128:131]// 00000001277C: D3D70080 0E02C522
	v_mfma_i32_16x16x32_i8 v[128:131], a[36:37], v[100:101], v[128:131]// 000000012784: D3D70080 0E02C924
	v_mfma_i32_16x16x32_i8 v[128:131], a[38:39], v[102:103], v[128:131]// 00000001278C: D3D70080 0E02CD26
	v_mfma_i32_16x16x32_i8 v[132:135], a[40:41], v[96:97], 0   // 000000012794: D3D70084 0A02C128
	v_mfma_i32_16x16x32_i8 v[132:135], a[42:43], v[98:99], v[132:135]// 00000001279C: D3D70084 0E12C52A
	v_mfma_i32_16x16x32_i8 v[132:135], a[44:45], v[100:101], v[132:135]// 0000000127A4: D3D70084 0E12C92C
	v_mfma_i32_16x16x32_i8 v[132:135], a[46:47], v[102:103], v[132:135]// 0000000127AC: D3D70084 0E12CD2E
	v_mfma_i32_16x16x32_i8 v[136:139], a[48:49], v[96:97], 0   // 0000000127B4: D3D70088 0A02C130
	v_mfma_i32_16x16x32_i8 v[136:139], a[50:51], v[98:99], v[136:139]// 0000000127BC: D3D70088 0E22C532
	v_mfma_i32_16x16x32_i8 v[136:139], a[52:53], v[100:101], v[136:139]// 0000000127C4: D3D70088 0E22C934
	v_mfma_i32_16x16x32_i8 v[136:139], a[54:55], v[102:103], v[136:139]// 0000000127CC: D3D70088 0E22CD36
	v_mfma_i32_16x16x32_i8 v[140:143], a[56:57], v[96:97], 0   // 0000000127D4: D3D7008C 0A02C138
	v_mfma_i32_16x16x32_i8 v[140:143], a[58:59], v[98:99], v[140:143]// 0000000127DC: D3D7008C 0E32C53A
	v_mfma_i32_16x16x32_i8 v[140:143], a[60:61], v[100:101], v[140:143]// 0000000127E4: D3D7008C 0E32C93C
	v_mfma_i32_16x16x32_i8 v[140:143], a[62:63], v[102:103], v[140:143]// 0000000127EC: D3D7008C 0E32CD3E
	v_mfma_i32_16x16x32_i8 v[144:147], a[32:33], v[104:105], 0 // 0000000127F4: D3D70090 0A02D120
	v_mfma_i32_16x16x32_i8 v[144:147], a[34:35], v[106:107], v[144:147]// 0000000127FC: D3D70090 0E42D522
	v_mfma_i32_16x16x32_i8 v[144:147], a[36:37], v[108:109], v[144:147]// 000000012804: D3D70090 0E42D924
	v_mfma_i32_16x16x32_i8 v[144:147], a[38:39], v[110:111], v[144:147]// 00000001280C: D3D70090 0E42DD26
	v_mfma_i32_16x16x32_i8 v[148:151], a[40:41], v[104:105], 0 // 000000012814: D3D70094 0A02D128
	v_mfma_i32_16x16x32_i8 v[148:151], a[42:43], v[106:107], v[148:151]// 00000001281C: D3D70094 0E52D52A
	v_mfma_i32_16x16x32_i8 v[148:151], a[44:45], v[108:109], v[148:151]// 000000012824: D3D70094 0E52D92C
	v_mfma_i32_16x16x32_i8 v[148:151], a[46:47], v[110:111], v[148:151]// 00000001282C: D3D70094 0E52DD2E
	v_mfma_i32_16x16x32_i8 v[152:155], a[48:49], v[104:105], 0 // 000000012834: D3D70098 0A02D130
	v_mfma_i32_16x16x32_i8 v[152:155], a[50:51], v[106:107], v[152:155]// 00000001283C: D3D70098 0E62D532
	v_mfma_i32_16x16x32_i8 v[152:155], a[52:53], v[108:109], v[152:155]// 000000012844: D3D70098 0E62D934
	v_mfma_i32_16x16x32_i8 v[152:155], a[54:55], v[110:111], v[152:155]// 00000001284C: D3D70098 0E62DD36
	v_mfma_i32_16x16x32_i8 v[156:159], a[56:57], v[104:105], 0 // 000000012854: D3D7009C 0A02D138
	v_mfma_i32_16x16x32_i8 v[156:159], a[58:59], v[106:107], v[156:159]// 00000001285C: D3D7009C 0E72D53A
	v_mfma_i32_16x16x32_i8 v[156:159], a[60:61], v[108:109], v[156:159]// 000000012864: D3D7009C 0E72D93C
	v_mfma_i32_16x16x32_i8 v[156:159], a[62:63], v[110:111], v[156:159]// 00000001286C: D3D7009C 0E72DD3E
	v_mov_b32_dpp v41, v53 row_shr:4 row_mask:0xf bank_mask:0xf// 000000012874: 7E5202FA FF011435
	v_mov_b32_dpp v42, v53 row_shl:4 row_mask:0xf bank_mask:0xf// 00000001287C: 7E5402FA FF010435
	v_cndmask_b32_e64 v248, v53, v41, s[44:45]                 // 000000012884: D10000F8 00B25335
	v_cndmask_b32_e64 v249, v42, v53, s[44:45]                 // 00000001288C: D10000F9 00B26B2A
	v_mov_b32_dpp v41, v248 row_shr:8 row_mask:0xf bank_mask:0xf// 000000012894: 7E5202FA FF0118F8
	v_mov_b32_dpp v42, v248 row_shl:8 row_mask:0xf bank_mask:0xf// 00000001289C: 7E5402FA FF0108F8
	v_mov_b32_dpp v43, v249 row_shr:8 row_mask:0xf bank_mask:0xf// 0000000128A4: 7E5602FA FF0118F9
	v_mov_b32_dpp v44, v249 row_shl:8 row_mask:0xf bank_mask:0xf// 0000000128AC: 7E5802FA FF0108F9
	v_mov_b32_e32 v45, v248                                    // 0000000128B4: 7E5A03F8
	v_mov_b32_e32 v46, v249                                    // 0000000128B8: 7E5C03F9
	v_cndmask_b32_e64 v248, v45, v41, s[42:43]                 // 0000000128BC: D10000F8 00AA532D
	v_cndmask_b32_e64 v250, v45, v42, s[78:79]                 // 0000000128C4: D10000FA 013A552D
	v_cndmask_b32_e64 v249, v46, v43, s[42:43]                 // 0000000128CC: D10000F9 00AA572E
	v_cndmask_b32_e64 v251, v46, v44, s[78:79]                 // 0000000128D4: D10000FB 013A592E
	v_mov_b32_dpp v41, v73 row_shr:4 row_mask:0xf bank_mask:0xf// 0000000128DC: 7E5202FA FF011449
	v_mov_b32_dpp v42, v73 row_shl:4 row_mask:0xf bank_mask:0xf// 0000000128E4: 7E5402FA FF010449
	v_cndmask_b32_e64 v252, v73, v41, s[44:45]                 // 0000000128EC: D10000FC 00B25349
	v_cndmask_b32_e64 v253, v42, v73, s[44:45]                 // 0000000128F4: D10000FD 00B2932A
	v_mov_b32_dpp v41, v252 row_shr:8 row_mask:0xf bank_mask:0xf// 0000000128FC: 7E5202FA FF0118FC
	v_mov_b32_dpp v42, v252 row_shl:8 row_mask:0xf bank_mask:0xf// 000000012904: 7E5402FA FF0108FC
	v_mov_b32_dpp v43, v253 row_shr:8 row_mask:0xf bank_mask:0xf// 00000001290C: 7E5602FA FF0118FD
	v_mov_b32_dpp v44, v253 row_shl:8 row_mask:0xf bank_mask:0xf// 000000012914: 7E5802FA FF0108FD
	v_mov_b32_e32 v45, v252                                    // 00000001291C: 7E5A03FC
	v_mov_b32_e32 v46, v253                                    // 000000012920: 7E5C03FD
	v_cndmask_b32_e64 v252, v45, v41, s[42:43]                 // 000000012924: D10000FC 00AA532D
	v_cndmask_b32_e64 v254, v45, v42, s[78:79]                 // 00000001292C: D10000FE 013A552D
	v_cndmask_b32_e64 v253, v46, v43, s[42:43]                 // 000000012934: D10000FD 00AA572E
	v_cndmask_b32_e64 v255, v46, v44, s[78:79]                 // 00000001293C: D10000FF 013A592E
	v_cvt_f32_i32_e32 v128, v128                               // 000000012944: 7F000B80
	v_cvt_f32_i32_e32 v129, v129                               // 000000012948: 7F020B81
	v_cvt_f32_i32_e32 v130, v130                               // 00000001294C: 7F040B82
	v_cvt_f32_i32_e32 v131, v131                               // 000000012950: 7F060B83
	v_cvt_f32_i32_e32 v132, v132                               // 000000012954: 7F080B84
	v_cvt_f32_i32_e32 v133, v133                               // 000000012958: 7F0A0B85
	v_cvt_f32_i32_e32 v134, v134                               // 00000001295C: 7F0C0B86
	v_cvt_f32_i32_e32 v135, v135                               // 000000012960: 7F0E0B87
	v_cvt_f32_i32_e32 v136, v136                               // 000000012964: 7F100B88
	v_cvt_f32_i32_e32 v137, v137                               // 000000012968: 7F120B89
	v_cvt_f32_i32_e32 v138, v138                               // 00000001296C: 7F140B8A
	v_cvt_f32_i32_e32 v139, v139                               // 000000012970: 7F160B8B
	v_cvt_f32_i32_e32 v140, v140                               // 000000012974: 7F180B8C
	v_cvt_f32_i32_e32 v141, v141                               // 000000012978: 7F1A0B8D
	v_cvt_f32_i32_e32 v142, v142                               // 00000001297C: 7F1C0B8E
	v_cvt_f32_i32_e32 v143, v143                               // 000000012980: 7F1E0B8F
	v_mul_f32_e32 v128, v54, v128                              // 000000012984: 0B010136
	v_mul_f32_e32 v129, v54, v129                              // 000000012988: 0B030336
	v_mul_f32_e32 v130, v54, v130                              // 00000001298C: 0B050536
	v_mul_f32_e32 v131, v54, v131                              // 000000012990: 0B070736
	v_mul_f32_e32 v132, v54, v132                              // 000000012994: 0B090936
	v_mul_f32_e32 v133, v54, v133                              // 000000012998: 0B0B0B36
	v_mul_f32_e32 v134, v54, v134                              // 00000001299C: 0B0D0D36
	v_mul_f32_e32 v135, v54, v135                              // 0000000129A0: 0B0F0F36
	v_mul_f32_e32 v136, v54, v136                              // 0000000129A4: 0B111136
	v_mul_f32_e32 v137, v54, v137                              // 0000000129A8: 0B131336
	v_mul_f32_e32 v138, v54, v138                              // 0000000129AC: 0B151536
	v_mul_f32_e32 v139, v54, v139                              // 0000000129B0: 0B171736
	v_mul_f32_e32 v140, v54, v140                              // 0000000129B4: 0B191936
	v_mul_f32_e32 v141, v54, v141                              // 0000000129B8: 0B1B1B36
	v_mul_f32_e32 v142, v54, v142                              // 0000000129BC: 0B1D1D36
	v_mul_f32_e32 v143, v54, v143                              // 0000000129C0: 0B1F1F36
	v_mul_f32_dpp v128, v248, v128 quad_perm:[0,0,0,0] row_mask:0xf bank_mask:0xf// 0000000129C4: 0B0100FA FF0000F8
	v_mul_f32_dpp v129, v248, v129 quad_perm:[1,1,1,1] row_mask:0xf bank_mask:0xf// 0000000129CC: 0B0302FA FF0055F8
	v_mul_f32_dpp v130, v248, v130 quad_perm:[2,2,2,2] row_mask:0xf bank_mask:0xf// 0000000129D4: 0B0504FA FF00AAF8
	v_mul_f32_dpp v131, v248, v131 quad_perm:[3,3,3,3] row_mask:0xf bank_mask:0xf// 0000000129DC: 0B0706FA FF00FFF8
	v_mul_f32_dpp v132, v249, v132 quad_perm:[0,0,0,0] row_mask:0xf bank_mask:0xf// 0000000129E4: 0B0908FA FF0000F9
	v_mul_f32_dpp v133, v249, v133 quad_perm:[1,1,1,1] row_mask:0xf bank_mask:0xf// 0000000129EC: 0B0B0AFA FF0055F9
	v_mul_f32_dpp v134, v249, v134 quad_perm:[2,2,2,2] row_mask:0xf bank_mask:0xf// 0000000129F4: 0B0D0CFA FF00AAF9
	v_mul_f32_dpp v135, v249, v135 quad_perm:[3,3,3,3] row_mask:0xf bank_mask:0xf// 0000000129FC: 0B0F0EFA FF00FFF9
	v_mul_f32_dpp v136, v250, v136 quad_perm:[0,0,0,0] row_mask:0xf bank_mask:0xf// 000000012A04: 0B1110FA FF0000FA
	v_mul_f32_dpp v137, v250, v137 quad_perm:[1,1,1,1] row_mask:0xf bank_mask:0xf// 000000012A0C: 0B1312FA FF0055FA
	v_mul_f32_dpp v138, v250, v138 quad_perm:[2,2,2,2] row_mask:0xf bank_mask:0xf// 000000012A14: 0B1514FA FF00AAFA
	v_mul_f32_dpp v139, v250, v139 quad_perm:[3,3,3,3] row_mask:0xf bank_mask:0xf// 000000012A1C: 0B1716FA FF00FFFA
	v_mul_f32_dpp v140, v251, v140 quad_perm:[0,0,0,0] row_mask:0xf bank_mask:0xf// 000000012A24: 0B1918FA FF0000FB
	v_mul_f32_dpp v141, v251, v141 quad_perm:[1,1,1,1] row_mask:0xf bank_mask:0xf// 000000012A2C: 0B1B1AFA FF0055FB
	v_mul_f32_dpp v142, v251, v142 quad_perm:[2,2,2,2] row_mask:0xf bank_mask:0xf// 000000012A34: 0B1D1CFA FF00AAFB
	v_mul_f32_dpp v143, v251, v143 quad_perm:[3,3,3,3] row_mask:0xf bank_mask:0xf// 000000012A3C: 0B1F1EFA FF00FFFB
	s_cmp_le_i32 s90, s89                                      // 000000012A44: BF05595A
	s_cbranch_scc1 label_4286                                  // 000000012A48: BF850073
	v_mov_b32_e32 v69, 0xff800000                              // 000000012A4C: 7E8A02FF FF800000
	s_mov_b32 s60, s90                                         // 000000012A54: BEBC005A
	s_add_u32 s61, s89, 0xff                                   // 000000012A58: 803DFF59 000000FF
	v_mov_b32_e32 v41, s61                                     // 000000012A60: 7E52023D
	v_lshrrev_b32_e32 v240, 4, v0                              // 000000012A64: 21E00084
	v_mul_i32_i24_e32 v240, 4, v240                            // 000000012A68: 0DE1E084
	v_add_u32_e32 v240, s60, v240                              // 000000012A6C: 69E1E03C
	v_and_b32_e32 v42, 15, v0                                  // 000000012A70: 2654008F
	v_lshrrev_b32_e32 v42, 3, v42                              // 000000012A74: 20545483
	s_mov_b32 s61, 0                                           // 000000012A78: BEBD0080
	s_mul_i32 s60, 16, s7                                      // 000000012A7C: 923C0790
	v_add_u32_e32 v42, s61, v42                                // 000000012A80: 6854543D
	v_sub_u32_e32 v240, v240, v42                              // 000000012A84: 6BE055F0
	v_add_u32_e32 v240, s60, v240                              // 000000012A88: 69E1E03C
	v_add_u32_e32 v241, 1, v240                                // 000000012A8C: 69E3E081
	v_add_u32_e32 v242, 2, v240                                // 000000012A90: 69E5E082
	v_add_u32_e32 v243, 3, v240                                // 000000012A94: 69E7E083
	v_cmp_le_u32_e64 s[40:41], v240, v41                       // 000000012A98: D0CB0028 000253F0
	v_add_u32_e32 v240, 64, v240                               // 000000012AA0: 69E1E0C0
	s_nop 0                                                    // 000000012AA4: BF800000
	v_cndmask_b32_e64 v128, v69, v128, s[40:41]                // 000000012AA8: D1000080 00A30145
	v_cmp_le_u32_e64 s[40:41], v241, v41                       // 000000012AB0: D0CB0028 000253F1
	v_add_u32_e32 v241, 64, v241                               // 000000012AB8: 69E3E2C0
	s_nop 0                                                    // 000000012ABC: BF800000
	v_cndmask_b32_e64 v129, v69, v129, s[40:41]                // 000000012AC0: D1000081 00A30345
	v_cmp_le_u32_e64 s[40:41], v242, v41                       // 000000012AC8: D0CB0028 000253F2
	v_add_u32_e32 v242, 64, v242                               // 000000012AD0: 69E5E4C0
	s_nop 0                                                    // 000000012AD4: BF800000
	v_cndmask_b32_e64 v130, v69, v130, s[40:41]                // 000000012AD8: D1000082 00A30545
	v_cmp_le_u32_e64 s[40:41], v243, v41                       // 000000012AE0: D0CB0028 000253F3
	v_add_u32_e32 v243, 64, v243                               // 000000012AE8: 69E7E6C0
	s_nop 0                                                    // 000000012AEC: BF800000
	v_cndmask_b32_e64 v131, v69, v131, s[40:41]                // 000000012AF0: D1000083 00A30745
	v_cmp_le_u32_e64 s[40:41], v240, v41                       // 000000012AF8: D0CB0028 000253F0
	v_add_u32_e32 v240, 64, v240                               // 000000012B00: 69E1E0C0
	s_nop 0                                                    // 000000012B04: BF800000
	v_cndmask_b32_e64 v132, v69, v132, s[40:41]                // 000000012B08: D1000084 00A30945
	v_cmp_le_u32_e64 s[40:41], v241, v41                       // 000000012B10: D0CB0028 000253F1
	v_add_u32_e32 v241, 64, v241                               // 000000012B18: 69E3E2C0
	s_nop 0                                                    // 000000012B1C: BF800000
	v_cndmask_b32_e64 v133, v69, v133, s[40:41]                // 000000012B20: D1000085 00A30B45
	v_cmp_le_u32_e64 s[40:41], v242, v41                       // 000000012B28: D0CB0028 000253F2
	v_add_u32_e32 v242, 64, v242                               // 000000012B30: 69E5E4C0
	s_nop 0                                                    // 000000012B34: BF800000
	v_cndmask_b32_e64 v134, v69, v134, s[40:41]                // 000000012B38: D1000086 00A30D45
	v_cmp_le_u32_e64 s[40:41], v243, v41                       // 000000012B40: D0CB0028 000253F3
	v_add_u32_e32 v243, 64, v243                               // 000000012B48: 69E7E6C0
	s_nop 0                                                    // 000000012B4C: BF800000
	v_cndmask_b32_e64 v135, v69, v135, s[40:41]                // 000000012B50: D1000087 00A30F45
	v_cmp_le_u32_e64 s[40:41], v240, v41                       // 000000012B58: D0CB0028 000253F0
	v_add_u32_e32 v240, 64, v240                               // 000000012B60: 69E1E0C0
	s_nop 0                                                    // 000000012B64: BF800000
	v_cndmask_b32_e64 v136, v69, v136, s[40:41]                // 000000012B68: D1000088 00A31145
	v_cmp_le_u32_e64 s[40:41], v241, v41                       // 000000012B70: D0CB0028 000253F1
	v_add_u32_e32 v241, 64, v241                               // 000000012B78: 69E3E2C0
	s_nop 0                                                    // 000000012B7C: BF800000
	v_cndmask_b32_e64 v137, v69, v137, s[40:41]                // 000000012B80: D1000089 00A31345
	v_cmp_le_u32_e64 s[40:41], v242, v41                       // 000000012B88: D0CB0028 000253F2
	v_add_u32_e32 v242, 64, v242                               // 000000012B90: 69E5E4C0
	s_nop 0                                                    // 000000012B94: BF800000
	v_cndmask_b32_e64 v138, v69, v138, s[40:41]                // 000000012B98: D100008A 00A31545
	v_cmp_le_u32_e64 s[40:41], v243, v41                       // 000000012BA0: D0CB0028 000253F3
	v_add_u32_e32 v243, 64, v243                               // 000000012BA8: 69E7E6C0
	s_nop 0                                                    // 000000012BAC: BF800000
	v_cndmask_b32_e64 v139, v69, v139, s[40:41]                // 000000012BB0: D100008B 00A31745
	v_cmp_le_u32_e64 s[40:41], v240, v41                       // 000000012BB8: D0CB0028 000253F0
	v_add_u32_e32 v240, 64, v240                               // 000000012BC0: 69E1E0C0
	s_nop 0                                                    // 000000012BC4: BF800000
	v_cndmask_b32_e64 v140, v69, v140, s[40:41]                // 000000012BC8: D100008C 00A31945
	v_cmp_le_u32_e64 s[40:41], v241, v41                       // 000000012BD0: D0CB0028 000253F1
	v_add_u32_e32 v241, 64, v241                               // 000000012BD8: 69E3E2C0
	s_nop 0                                                    // 000000012BDC: BF800000
	v_cndmask_b32_e64 v141, v69, v141, s[40:41]                // 000000012BE0: D100008D 00A31B45
	v_cmp_le_u32_e64 s[40:41], v242, v41                       // 000000012BE8: D0CB0028 000253F2
	v_add_u32_e32 v242, 64, v242                               // 000000012BF0: 69E5E4C0
	s_nop 0                                                    // 000000012BF4: BF800000
	v_cndmask_b32_e64 v142, v69, v142, s[40:41]                // 000000012BF8: D100008E 00A31D45
	v_cmp_le_u32_e64 s[40:41], v243, v41                       // 000000012C00: D0CB0028 000253F3
	v_add_u32_e32 v243, 64, v243                               // 000000012C08: 69E7E6C0
	s_nop 0                                                    // 000000012C0C: BF800000
	v_cndmask_b32_e64 v143, v69, v143, s[40:41]                // 000000012C10: D100008F 00A31F45

0000000000012c18 <label_4286>:
	s_and_b32 s60, s72, 0xff                                   // 000000012C18: 863CFF48 000000FF
	v_mov_b32_e32 v42, s60                                     // 000000012C20: 7E54023C
	v_lshrrev_b32_e32 v240, 4, v0                              // 000000012C24: 21E00084
	v_mul_i32_i24_e32 v240, 4, v240                            // 000000012C28: 0DE1E084
	s_mul_i32 s60, s7, 16                                      // 000000012C2C: 923C9007
	v_add_u32_e32 v240, s60, v240                              // 000000012C30: 69E1E03C
	v_add_u32_e32 v241, 1, v240                                // 000000012C34: 69E3E081
	v_add_u32_e32 v242, 2, v240                                // 000000012C38: 69E5E082
	v_add_u32_e32 v243, 3, v240                                // 000000012C3C: 69E7E083
	v_mov_b32_e32 v41, 0xff800000                              // 000000012C40: 7E5202FF FF800000
	v_cmp_lt_u32_e64 s[40:41], v240, v42                       // 000000012C48: D0C90028 000255F0
	v_add_u32_e32 v240, 64, v240                               // 000000012C50: 69E1E0C0
	s_nop 0                                                    // 000000012C54: BF800000
	v_cndmask_b32_e64 v128, v41, v128, s[40:41]                // 000000012C58: D1000080 00A30129
	v_cmp_lt_u32_e64 s[40:41], v241, v42                       // 000000012C60: D0C90028 000255F1
	v_add_u32_e32 v241, 64, v241                               // 000000012C68: 69E3E2C0
	s_nop 0                                                    // 000000012C6C: BF800000
	v_cndmask_b32_e64 v129, v41, v129, s[40:41]                // 000000012C70: D1000081 00A30329
	v_cmp_lt_u32_e64 s[40:41], v242, v42                       // 000000012C78: D0C90028 000255F2
	v_add_u32_e32 v242, 64, v242                               // 000000012C80: 69E5E4C0
	s_nop 0                                                    // 000000012C84: BF800000
	v_cndmask_b32_e64 v130, v41, v130, s[40:41]                // 000000012C88: D1000082 00A30529
	v_cmp_lt_u32_e64 s[40:41], v243, v42                       // 000000012C90: D0C90028 000255F3
	v_add_u32_e32 v243, 64, v243                               // 000000012C98: 69E7E6C0
	s_nop 0                                                    // 000000012C9C: BF800000
	v_cndmask_b32_e64 v131, v41, v131, s[40:41]                // 000000012CA0: D1000083 00A30729
	v_cmp_lt_u32_e64 s[40:41], v240, v42                       // 000000012CA8: D0C90028 000255F0
	v_add_u32_e32 v240, 64, v240                               // 000000012CB0: 69E1E0C0
	s_nop 0                                                    // 000000012CB4: BF800000
	v_cndmask_b32_e64 v132, v41, v132, s[40:41]                // 000000012CB8: D1000084 00A30929
	v_cmp_lt_u32_e64 s[40:41], v241, v42                       // 000000012CC0: D0C90028 000255F1
	v_add_u32_e32 v241, 64, v241                               // 000000012CC8: 69E3E2C0
	s_nop 0                                                    // 000000012CCC: BF800000
	v_cndmask_b32_e64 v133, v41, v133, s[40:41]                // 000000012CD0: D1000085 00A30B29
	v_cmp_lt_u32_e64 s[40:41], v242, v42                       // 000000012CD8: D0C90028 000255F2
	v_add_u32_e32 v242, 64, v242                               // 000000012CE0: 69E5E4C0
	s_nop 0                                                    // 000000012CE4: BF800000
	v_cndmask_b32_e64 v134, v41, v134, s[40:41]                // 000000012CE8: D1000086 00A30D29
	v_cmp_lt_u32_e64 s[40:41], v243, v42                       // 000000012CF0: D0C90028 000255F3
	v_add_u32_e32 v243, 64, v243                               // 000000012CF8: 69E7E6C0
	s_nop 0                                                    // 000000012CFC: BF800000
	v_cndmask_b32_e64 v135, v41, v135, s[40:41]                // 000000012D00: D1000087 00A30F29
	v_cmp_lt_u32_e64 s[40:41], v240, v42                       // 000000012D08: D0C90028 000255F0
	v_add_u32_e32 v240, 64, v240                               // 000000012D10: 69E1E0C0
	s_nop 0                                                    // 000000012D14: BF800000
	v_cndmask_b32_e64 v136, v41, v136, s[40:41]                // 000000012D18: D1000088 00A31129
	v_cmp_lt_u32_e64 s[40:41], v241, v42                       // 000000012D20: D0C90028 000255F1
	v_add_u32_e32 v241, 64, v241                               // 000000012D28: 69E3E2C0
	s_nop 0                                                    // 000000012D2C: BF800000
	v_cndmask_b32_e64 v137, v41, v137, s[40:41]                // 000000012D30: D1000089 00A31329
	v_cmp_lt_u32_e64 s[40:41], v242, v42                       // 000000012D38: D0C90028 000255F2
	v_add_u32_e32 v242, 64, v242                               // 000000012D40: 69E5E4C0
	s_nop 0                                                    // 000000012D44: BF800000
	v_cndmask_b32_e64 v138, v41, v138, s[40:41]                // 000000012D48: D100008A 00A31529
	v_cmp_lt_u32_e64 s[40:41], v243, v42                       // 000000012D50: D0C90028 000255F3
	v_add_u32_e32 v243, 64, v243                               // 000000012D58: 69E7E6C0
	s_nop 0                                                    // 000000012D5C: BF800000
	v_cndmask_b32_e64 v139, v41, v139, s[40:41]                // 000000012D60: D100008B 00A31729
	v_cmp_lt_u32_e64 s[40:41], v240, v42                       // 000000012D68: D0C90028 000255F0
	v_add_u32_e32 v240, 64, v240                               // 000000012D70: 69E1E0C0
	s_nop 0                                                    // 000000012D74: BF800000
	v_cndmask_b32_e64 v140, v41, v140, s[40:41]                // 000000012D78: D100008C 00A31929
	v_cmp_lt_u32_e64 s[40:41], v241, v42                       // 000000012D80: D0C90028 000255F1
	v_add_u32_e32 v241, 64, v241                               // 000000012D88: 69E3E2C0
	s_nop 0                                                    // 000000012D8C: BF800000
	v_cndmask_b32_e64 v141, v41, v141, s[40:41]                // 000000012D90: D100008D 00A31B29
	v_cmp_lt_u32_e64 s[40:41], v242, v42                       // 000000012D98: D0C90028 000255F2
	v_add_u32_e32 v242, 64, v242                               // 000000012DA0: 69E5E4C0
	s_nop 0                                                    // 000000012DA4: BF800000
	v_cndmask_b32_e64 v142, v41, v142, s[40:41]                // 000000012DA8: D100008E 00A31D29
	v_cmp_lt_u32_e64 s[40:41], v243, v42                       // 000000012DB0: D0C90028 000255F3
	v_add_u32_e32 v243, 64, v243                               // 000000012DB8: 69E7E6C0
	s_nop 0                                                    // 000000012DBC: BF800000
	v_cndmask_b32_e64 v143, v41, v143, s[40:41]                // 000000012DC0: D100008F 00A31F29
	v_mov_b32_e32 v62, v128                                    // 000000012DC8: 7E7C0380
	v_max3_f32 v62, v128, v129, v62                            // 000000012DCC: D1D3003E 04FB0380
	v_max3_f32 v62, v130, v131, v62                            // 000000012DD4: D1D3003E 04FB0782
	v_max3_f32 v62, v132, v133, v62                            // 000000012DDC: D1D3003E 04FB0B84
	v_max3_f32 v62, v134, v135, v62                            // 000000012DE4: D1D3003E 04FB0F86
	v_max3_f32 v62, v136, v137, v62                            // 000000012DEC: D1D3003E 04FB1388
	v_max3_f32 v62, v138, v139, v62                            // 000000012DF4: D1D3003E 04FB178A
	v_max3_f32 v62, v140, v141, v62                            // 000000012DFC: D1D3003E 04FB1B8C
	v_max3_f32 v62, v142, v143, v62                            // 000000012E04: D1D3003E 04FB1F8E
	ds_write_b32 v11, v62 offset:16896                         // 000000012E0C: D81A4200 00003E0B
	v_mul_u32_u24_dpp v41, v19, v68 row_newbcast:1 row_mask:0xf bank_mask:0xf// 000000012E14: 105288FA FF015113
	v_mul_u32_u24_dpp v42, v19, v68 row_newbcast:5 row_mask:0xf bank_mask:0xf// 000000012E1C: 105488FA FF015513
	v_mul_u32_u24_dpp v43, v19, v68 row_newbcast:9 row_mask:0xf bank_mask:0xf// 000000012E24: 105688FA FF015913
	v_mul_u32_u24_dpp v44, v19, v68 row_newbcast:13 row_mask:0xf bank_mask:0xf// 000000012E2C: 105888FA FF015D13
	v_add_u32_e32 v33, v41, v7                                 // 000000012E34: 68420F29
	v_add_u32_e32 v34, v42, v7                                 // 000000012E38: 68440F2A
	v_add_u32_e32 v35, v43, v7                                 // 000000012E3C: 68460F2B
	v_add_u32_e32 v36, v44, v7                                 // 000000012E40: 68480F2C
	v_mul_f32_e32 v224, v63, v224                              // 000000012E44: 0BC1C13F
	v_mul_f32_e32 v225, v63, v225                              // 000000012E48: 0BC3C33F
	v_mul_f32_e32 v226, v63, v226                              // 000000012E4C: 0BC5C53F
	v_mul_f32_e32 v227, v63, v227                              // 000000012E50: 0BC7C73F
	v_mul_f32_e32 v228, v63, v228                              // 000000012E54: 0BC9C93F
	v_mul_f32_e32 v229, v63, v229                              // 000000012E58: 0BCBCB3F
	v_mul_f32_e32 v230, v63, v230                              // 000000012E5C: 0BCDCD3F
	v_mul_f32_e32 v231, v63, v231                              // 000000012E60: 0BCFCF3F
	s_waitcnt lgkmcnt(0)                                       // 000000012E64: BF8CC07F
	s_barrier                                                  // 000000012E68: BF8A0000
	ds_read_b32 v80, v10 offset:16896                          // 000000012E6C: D86C4200 5000000A
	ds_read_b32 v81, v10 offset:16960                          // 000000012E74: D86C4240 5100000A
	ds_read_b32 v82, v10 offset:17024                          // 000000012E7C: D86C4280 5200000A
	ds_read_b32 v83, v10 offset:17088                          // 000000012E84: D86C42C0 5300000A
	ds_read_b32 v84, v10 offset:17152                          // 000000012E8C: D86C4300 5400000A
	ds_read_b32 v85, v10 offset:17216                          // 000000012E94: D86C4340 5500000A
	ds_read_b32 v86, v10 offset:17280                          // 000000012E9C: D86C4380 5600000A
	ds_read_b32 v87, v10 offset:17344                          // 000000012EA4: D86C43C0 5700000A
	ds_read_b32 v88, v10 offset:17408                          // 000000012EAC: D86C4400 5800000A
	ds_read_b32 v89, v10 offset:17472                          // 000000012EB4: D86C4440 5900000A
	ds_read_b32 v90, v10 offset:17536                          // 000000012EBC: D86C4480 5A00000A
	ds_read_b32 v91, v10 offset:17600                          // 000000012EC4: D86C44C0 5B00000A
	ds_read_b32 v92, v10 offset:17664                          // 000000012ECC: D86C4500 5C00000A
	ds_read_b32 v93, v10 offset:17728                          // 000000012ED4: D86C4540 5D00000A
	ds_read_b32 v94, v10 offset:17792                          // 000000012EDC: D86C4580 5E00000A
	ds_read_b32 v95, v10 offset:17856                          // 000000012EE4: D86C45C0 5F00000A
	v_cvt_f32_i32_e32 v192, v192                               // 000000012EEC: 7F800BC0
	v_cvt_f32_i32_e32 v193, v193                               // 000000012EF0: 7F820BC1
	v_cvt_f32_i32_e32 v194, v194                               // 000000012EF4: 7F840BC2
	v_cvt_f32_i32_e32 v195, v195                               // 000000012EF8: 7F860BC3
	v_cvt_f32_i32_e32 v196, v196                               // 000000012EFC: 7F880BC4
	v_cvt_f32_i32_e32 v197, v197                               // 000000012F00: 7F8A0BC5
	v_cvt_f32_i32_e32 v198, v198                               // 000000012F04: 7F8C0BC6
	v_cvt_f32_i32_e32 v199, v199                               // 000000012F08: 7F8E0BC7
	v_mul_f32_e32 v192, v58, v192                              // 000000012F0C: 0B81813A
	v_mul_f32_e32 v193, v58, v193                              // 000000012F10: 0B83833A
	v_mul_f32_e32 v194, v58, v194                              // 000000012F14: 0B85853A
	v_mul_f32_e32 v195, v58, v195                              // 000000012F18: 0B87873A
	v_mul_f32_e32 v196, v58, v196                              // 000000012F1C: 0B89893A
	v_mul_f32_e32 v197, v58, v197                              // 000000012F20: 0B8B8B3A
	v_mul_f32_e32 v198, v58, v198                              // 000000012F24: 0B8D8D3A
	v_mul_f32_e32 v199, v58, v199                              // 000000012F28: 0B8F8F3A
	s_waitcnt lgkmcnt(0)                                       // 000000012F2C: BF8CC07F
	v_max3_f32 v62, v80, v81, v62                              // 000000012F30: D1D3003E 04FAA350
	v_max3_f32 v62, v82, v83, v62                              // 000000012F38: D1D3003E 04FAA752
	v_max3_f32 v62, v84, v85, v62                              // 000000012F40: D1D3003E 04FAAB54
	v_max3_f32 v62, v86, v87, v62                              // 000000012F48: D1D3003E 04FAAF56
	v_max3_f32 v62, v88, v89, v62                              // 000000012F50: D1D3003E 04FAB358
	v_max3_f32 v62, v90, v91, v62                              // 000000012F58: D1D3003E 04FAB75A
	v_max3_f32 v62, v92, v93, v62                              // 000000012F60: D1D3003E 04FABB5C
	v_max3_f32 v62, v94, v95, v62                              // 000000012F68: D1D3003E 04FABF5E
	v_mov_b32_e32 v41, 0xff800000                              // 000000012F70: 7E5202FF FF800000
	v_cmp_eq_u32_e64 s[40:41], v41, v14                        // 000000012F78: D0CA0028 00021D29
	s_nop 1                                                    // 000000012F80: BF800001
	v_max_f32_e32 v18, v62, v14                                // 000000012F84: 16241D3E
	v_mul_f32_e32 v67, s64, v18                                // 000000012F88: 0A862440
	v_fma_f32 v128, v128, s64, -v67                            // 000000012F8C: D1CB0080 850C8180
	v_fma_f32 v129, v129, s64, -v67                            // 000000012F94: D1CB0081 850C8181
	v_fma_f32 v130, v130, s64, -v67                            // 000000012F9C: D1CB0082 850C8182
	v_fma_f32 v131, v131, s64, -v67                            // 000000012FA4: D1CB0083 850C8183
	v_fma_f32 v132, v132, s64, -v67                            // 000000012FAC: D1CB0084 850C8184
	v_fma_f32 v133, v133, s64, -v67                            // 000000012FB4: D1CB0085 850C8185
	v_fma_f32 v134, v134, s64, -v67                            // 000000012FBC: D1CB0086 850C8186
	v_fma_f32 v135, v135, s64, -v67                            // 000000012FC4: D1CB0087 850C8187
	v_fma_f32 v136, v136, s64, -v67                            // 000000012FCC: D1CB0088 850C8188
	v_fma_f32 v137, v137, s64, -v67                            // 000000012FD4: D1CB0089 850C8189
	v_fma_f32 v138, v138, s64, -v67                            // 000000012FDC: D1CB008A 850C818A
	v_fma_f32 v139, v139, s64, -v67                            // 000000012FE4: D1CB008B 850C818B
	v_fma_f32 v140, v140, s64, -v67                            // 000000012FEC: D1CB008C 850C818C
	v_fma_f32 v141, v141, s64, -v67                            // 000000012FF4: D1CB008D 850C818D
	v_fma_f32 v142, v142, s64, -v67                            // 000000012FFC: D1CB008E 850C818E
	v_fma_f32 v143, v143, s64, -v67                            // 000000013004: D1CB008F 850C818F
	v_exp_f32_e32 v128, v128                                   // 00000001300C: 7F004180
	v_exp_f32_e32 v129, v129                                   // 000000013010: 7F024181
	v_exp_f32_e32 v130, v130                                   // 000000013014: 7F044182
	v_exp_f32_e32 v131, v131                                   // 000000013018: 7F064183
	v_exp_f32_e32 v132, v132                                   // 00000001301C: 7F084184
	v_exp_f32_e32 v133, v133                                   // 000000013020: 7F0A4185
	v_exp_f32_e32 v134, v134                                   // 000000013024: 7F0C4186
	v_exp_f32_e32 v135, v135                                   // 000000013028: 7F0E4187
	v_exp_f32_e32 v136, v136                                   // 00000001302C: 7F104188
	v_exp_f32_e32 v137, v137                                   // 000000013030: 7F124189
	v_exp_f32_e32 v138, v138                                   // 000000013034: 7F14418A
	v_exp_f32_e32 v139, v139                                   // 000000013038: 7F16418B
	v_exp_f32_e32 v140, v140                                   // 00000001303C: 7F18418C
	v_exp_f32_e32 v141, v141                                   // 000000013040: 7F1A418D
	v_exp_f32_e32 v142, v142                                   // 000000013044: 7F1C418E
	v_exp_f32_e32 v143, v143                                   // 000000013048: 7F1E418F
	v_mul_f32_dpp v240, v252, v128 quad_perm:[0,0,0,0] row_mask:0xf bank_mask:0xf// 00000001304C: 0BE100FA FF0000FC
	v_mul_f32_dpp v241, v252, v129 quad_perm:[1,1,1,1] row_mask:0xf bank_mask:0xf// 000000013054: 0BE302FA FF0055FC
	v_mul_f32_dpp v242, v252, v130 quad_perm:[2,2,2,2] row_mask:0xf bank_mask:0xf// 00000001305C: 0BE504FA FF00AAFC
	v_mul_f32_dpp v243, v252, v131 quad_perm:[3,3,3,3] row_mask:0xf bank_mask:0xf// 000000013064: 0BE706FA FF00FFFC
	v_mul_f32_dpp v244, v253, v132 quad_perm:[0,0,0,0] row_mask:0xf bank_mask:0xf// 00000001306C: 0BE908FA FF0000FD
	v_mul_f32_dpp v245, v253, v133 quad_perm:[1,1,1,1] row_mask:0xf bank_mask:0xf// 000000013074: 0BEB0AFA FF0055FD
	v_mul_f32_dpp v246, v253, v134 quad_perm:[2,2,2,2] row_mask:0xf bank_mask:0xf// 00000001307C: 0BED0CFA FF00AAFD
	v_mul_f32_dpp v247, v253, v135 quad_perm:[3,3,3,3] row_mask:0xf bank_mask:0xf// 000000013084: 0BEF0EFA FF00FFFD
	v_mul_f32_dpp v248, v254, v136 quad_perm:[0,0,0,0] row_mask:0xf bank_mask:0xf// 00000001308C: 0BF110FA FF0000FE
	v_mul_f32_dpp v249, v254, v137 quad_perm:[1,1,1,1] row_mask:0xf bank_mask:0xf// 000000013094: 0BF312FA FF0055FE
	v_mul_f32_dpp v250, v254, v138 quad_perm:[2,2,2,2] row_mask:0xf bank_mask:0xf// 00000001309C: 0BF514FA FF00AAFE
	v_mul_f32_dpp v251, v254, v139 quad_perm:[3,3,3,3] row_mask:0xf bank_mask:0xf// 0000000130A4: 0BF716FA FF00FFFE
	v_mul_f32_dpp v252, v255, v140 quad_perm:[0,0,0,0] row_mask:0xf bank_mask:0xf// 0000000130AC: 0BF918FA FF0000FF
	v_mul_f32_dpp v253, v255, v141 quad_perm:[1,1,1,1] row_mask:0xf bank_mask:0xf// 0000000130B4: 0BFB1AFA FF0055FF
	v_mul_f32_dpp v254, v255, v142 quad_perm:[2,2,2,2] row_mask:0xf bank_mask:0xf// 0000000130BC: 0BFD1CFA FF00AAFF
	v_mul_f32_dpp v255, v255, v143 quad_perm:[3,3,3,3] row_mask:0xf bank_mask:0xf// 0000000130C4: 0BFF1EFA FF00FFFF
	v_mov_b32_e32 v62, 0x358637bd                              // 0000000130CC: 7E7C02FF 358637BD
	v_max3_f32 v62, |v240|, |v241|, v62                        // 0000000130D4: D1D3033E 04FBE3F0
	v_max3_f32 v62, |v242|, |v243|, v62                        // 0000000130DC: D1D3033E 04FBE7F2
	v_max3_f32 v62, |v244|, |v245|, v62                        // 0000000130E4: D1D3033E 04FBEBF4
	v_max3_f32 v62, |v246|, |v247|, v62                        // 0000000130EC: D1D3033E 04FBEFF6
	v_max3_f32 v62, |v248|, |v249|, v62                        // 0000000130F4: D1D3033E 04FBF3F8
	v_max3_f32 v62, |v250|, |v251|, v62                        // 0000000130FC: D1D3033E 04FBF7FA
	v_max3_f32 v62, |v252|, |v253|, v62                        // 000000013104: D1D3033E 04FBFBFC
	v_max3_f32 v62, |v254|, |v255|, v62                        // 00000001310C: D1D3033E 04FBFFFE
	ds_write_b32 v11, v62 offset:20992                         // 000000013114: D81A5200 00003E0B
	v_sub_f32_e32 v63, v14, v18                                // 00000001311C: 047E250E
	v_cndmask_b32_e64 v63, v63, 0, s[40:41]                    // 000000013120: D100003F 00A1013F
	v_mov_b32_e32 v14, v18                                     // 000000013128: 7E1C0312
	v_mul_f32_e32 v63, s64, v63                                // 00000001312C: 0A7E7E40
	v_exp_f32_e32 v63, v63                                     // 000000013130: 7E7E413F
	s_waitcnt lgkmcnt(0)                                       // 000000013134: BF8CC07F
	s_barrier                                                  // 000000013138: BF8A0000
	ds_read_b32 v80, v10 offset:20992                          // 00000001313C: D86C5200 5000000A
	ds_read_b32 v81, v10 offset:21056                          // 000000013144: D86C5240 5100000A
	ds_read_b32 v82, v10 offset:21120                          // 00000001314C: D86C5280 5200000A
	ds_read_b32 v83, v10 offset:21184                          // 000000013154: D86C52C0 5300000A
	ds_read_b32 v84, v10 offset:21248                          // 00000001315C: D86C5300 5400000A
	ds_read_b32 v85, v10 offset:21312                          // 000000013164: D86C5340 5500000A
	ds_read_b32 v86, v10 offset:21376                          // 00000001316C: D86C5380 5600000A
	ds_read_b32 v87, v10 offset:21440                          // 000000013174: D86C53C0 5700000A
	ds_read_b32 v88, v10 offset:21504                          // 00000001317C: D86C5400 5800000A
	ds_read_b32 v89, v10 offset:21568                          // 000000013184: D86C5440 5900000A
	ds_read_b32 v90, v10 offset:21632                          // 00000001318C: D86C5480 5A00000A
	ds_read_b32 v91, v10 offset:21696                          // 000000013194: D86C54C0 5B00000A
	ds_read_b32 v92, v10 offset:21760                          // 00000001319C: D86C5500 5C00000A
	ds_read_b32 v93, v10 offset:21824                          // 0000000131A4: D86C5540 5D00000A
	ds_read_b32 v94, v10 offset:21888                          // 0000000131AC: D86C5580 5E00000A
	ds_read_b32 v95, v10 offset:21952                          // 0000000131B4: D86C55C0 5F00000A
	v_mul_f32_e32 v47, v63, v47                                // 0000000131BC: 0A5E5F3F
	v_mov_b32_e32 v18, v128                                    // 0000000131C0: 7E240380
	v_add_f32_e32 v18, v129, v18                               // 0000000131C4: 02242581
	v_add_f32_e32 v18, v130, v18                               // 0000000131C8: 02242582
	v_add_f32_e32 v18, v131, v18                               // 0000000131CC: 02242583
	v_add_f32_e32 v18, v132, v18                               // 0000000131D0: 02242584
	v_add_f32_e32 v18, v133, v18                               // 0000000131D4: 02242585
	v_add_f32_e32 v18, v134, v18                               // 0000000131D8: 02242586
	v_add_f32_e32 v18, v135, v18                               // 0000000131DC: 02242587
	v_add_f32_e32 v18, v136, v18                               // 0000000131E0: 02242588
	v_add_f32_e32 v18, v137, v18                               // 0000000131E4: 02242589
	v_add_f32_e32 v18, v138, v18                               // 0000000131E8: 0224258A
	v_add_f32_e32 v18, v139, v18                               // 0000000131EC: 0224258B
	v_add_f32_e32 v18, v140, v18                               // 0000000131F0: 0224258C
	v_add_f32_e32 v18, v141, v18                               // 0000000131F4: 0224258D
	v_add_f32_e32 v18, v142, v18                               // 0000000131F8: 0224258E
	v_add_f32_e32 v18, v143, v18                               // 0000000131FC: 0224258F
	v_add_f32_e32 v47, v18, v47                                // 000000013200: 025E5F12
	s_waitcnt lgkmcnt(0)                                       // 000000013204: BF8CC07F
	v_max3_f32 v62, |v80|, |v81|, v62                          // 000000013208: D1D3033E 04FAA350
	v_max3_f32 v62, |v82|, |v83|, v62                          // 000000013210: D1D3033E 04FAA752
	v_max3_f32 v62, |v84|, |v85|, v62                          // 000000013218: D1D3033E 04FAAB54
	v_max3_f32 v62, |v86|, |v87|, v62                          // 000000013220: D1D3033E 04FAAF56
	v_max3_f32 v62, |v88|, |v89|, v62                          // 000000013228: D1D3033E 04FAB358
	v_max3_f32 v62, |v90|, |v91|, v62                          // 000000013230: D1D3033E 04FAB75A
	v_max3_f32 v62, |v92|, |v93|, v62                          // 000000013238: D1D3033E 04FABB5C
	v_max3_f32 v62, |v94|, |v95|, v62                          // 000000013240: D1D3033E 04FABF5E
	s_nop 2                                                    // 000000013248: BF800002
	v_rcp_f32_e32 v62, v62                                     // 00000001324C: 7E7C453E
	s_nop 1                                                    // 000000013250: BF800001
	v_mul_f32_e32 v62, 0x42fe0000, v62                         // 000000013254: 0A7C7CFF 42FE0000
	v_mul_f32_e32 v128, v62, v240                              // 00000001325C: 0B01E13E
	v_mul_f32_e32 v129, v62, v241                              // 000000013260: 0B03E33E
	v_mul_f32_e32 v130, v62, v242                              // 000000013264: 0B05E53E
	v_mul_f32_e32 v131, v62, v243                              // 000000013268: 0B07E73E
	v_mul_f32_e32 v132, v62, v244                              // 00000001326C: 0B09E93E
	v_mul_f32_e32 v133, v62, v245                              // 000000013270: 0B0BEB3E
	v_mul_f32_e32 v134, v62, v246                              // 000000013274: 0B0DED3E
	v_mul_f32_e32 v135, v62, v247                              // 000000013278: 0B0FEF3E
	v_mul_f32_e32 v136, v62, v248                              // 00000001327C: 0B11F13E
	v_mul_f32_e32 v137, v62, v249                              // 000000013280: 0B13F33E
	v_mul_f32_e32 v138, v62, v250                              // 000000013284: 0B15F53E
	v_mul_f32_e32 v139, v62, v251                              // 000000013288: 0B17F73E
	v_mul_f32_e32 v140, v62, v252                              // 00000001328C: 0B19F93E
	v_mul_f32_e32 v141, v62, v253                              // 000000013290: 0B1BFB3E
	v_mul_f32_e32 v142, v62, v254                              // 000000013294: 0B1DFD3E
	v_mul_f32_e32 v143, v62, v255                              // 000000013298: 0B1FFF3E
	v_cvt_i32_f32_e32 v128, v128                               // 00000001329C: 7F001180
	v_cvt_i32_f32_e32 v129, v129                               // 0000000132A0: 7F021181
	v_cvt_i32_f32_e32 v130, v130                               // 0000000132A4: 7F041182
	v_cvt_i32_f32_e32 v131, v131                               // 0000000132A8: 7F061183
	v_cvt_i32_f32_e32 v132, v132                               // 0000000132AC: 7F081184
	v_cvt_i32_f32_e32 v133, v133                               // 0000000132B0: 7F0A1185
	v_cvt_i32_f32_e32 v134, v134                               // 0000000132B4: 7F0C1186
	v_cvt_i32_f32_e32 v135, v135                               // 0000000132B8: 7F0E1187
	v_cvt_i32_f32_e32 v136, v136                               // 0000000132BC: 7F101188
	v_cvt_i32_f32_e32 v137, v137                               // 0000000132C0: 7F121189
	v_cvt_i32_f32_e32 v138, v138                               // 0000000132C4: 7F14118A
	v_cvt_i32_f32_e32 v139, v139                               // 0000000132C8: 7F16118B
	v_cvt_i32_f32_e32 v140, v140                               // 0000000132CC: 7F18118C
	v_cvt_i32_f32_e32 v141, v141                               // 0000000132D0: 7F1A118D
	v_cvt_i32_f32_e32 v142, v142                               // 0000000132D4: 7F1C118E
	v_cvt_i32_f32_e32 v143, v143                               // 0000000132D8: 7F1E118F
	v_perm_b32 v128, v129, v128, s53                           // 0000000132DC: D1ED0080 00D70181
	v_perm_b32 v128, v130, v128, s54                           // 0000000132E4: D1ED0080 00DB0182
	v_perm_b32 v128, v131, v128, s55                           // 0000000132EC: D1ED0080 00DF0183
	v_perm_b32 v129, v133, v132, s53                           // 0000000132F4: D1ED0081 00D70985
	v_perm_b32 v129, v134, v129, s54                           // 0000000132FC: D1ED0081 00DB0386
	v_perm_b32 v129, v135, v129, s55                           // 000000013304: D1ED0081 00DF0387
	v_perm_b32 v130, v137, v136, s53                           // 00000001330C: D1ED0082 00D71189
	v_perm_b32 v130, v138, v130, s54                           // 000000013314: D1ED0082 00DB058A
	v_perm_b32 v130, v139, v130, s55                           // 00000001331C: D1ED0082 00DF058B
	v_perm_b32 v131, v141, v140, s53                           // 000000013324: D1ED0083 00D7198D
	v_perm_b32 v131, v142, v131, s54                           // 00000001332C: D1ED0083 00DB078E
	v_perm_b32 v131, v143, v131, s55                           // 000000013334: D1ED0083 00DF078F
	ds_write_b32 v13, v128 offset:25088                        // 00000001333C: D81A6200 0000800D
	ds_write_b32 v13, v129 offset:26112                        // 000000013344: D81A6600 0000810D
	ds_write_b32 v13, v130 offset:27136                        // 00000001334C: D81A6A00 0000820D
	ds_write_b32 v13, v131 offset:28160                        // 000000013354: D81A6E00 0000830D
	v_add_f32_e32 v224, v224, v192                             // 00000001335C: 03C181E0
	v_add_f32_e32 v225, v225, v193                             // 000000013360: 03C383E1
	v_add_f32_e32 v226, v226, v194                             // 000000013364: 03C585E2
	v_add_f32_e32 v227, v227, v195                             // 000000013368: 03C787E3
	v_add_f32_e32 v228, v228, v196                             // 00000001336C: 03C989E4
	v_add_f32_e32 v229, v229, v197                             // 000000013370: 03CB8BE5
	v_add_f32_e32 v230, v230, v198                             // 000000013374: 03CD8DE6
	v_add_f32_e32 v231, v231, v199                             // 000000013378: 03CF8FE7
	v_rcp_f32_e32 v58, v62                                     // 00000001337C: 7E74453E
	s_waitcnt lgkmcnt(0)                                       // 000000013380: BF8CC07F
	s_barrier                                                  // 000000013384: BF8A0000
	ds_read_b64 v[128:129], v12 offset:25088                   // 000000013388: D8EC6200 8000000C
	ds_read_b64 v[130:131], v12 offset:25216                   // 000000013390: D8EC6280 8200000C
	ds_read_b64 v[132:133], v12 offset:26112                   // 000000013398: D8EC6600 8400000C
	ds_read_b64 v[134:135], v12 offset:26240                   // 0000000133A0: D8EC6680 8600000C
	ds_read_b64 v[136:137], v12 offset:27136                   // 0000000133A8: D8EC6A00 8800000C
	ds_read_b64 v[138:139], v12 offset:27264                   // 0000000133B0: D8EC6A80 8A00000C
	ds_read_b64 v[140:141], v12 offset:28160                   // 0000000133B8: D8EC6E00 8C00000C
	ds_read_b64 v[142:143], v12 offset:28288                   // 0000000133C0: D8EC6E80 8E00000C
	v_mov_b32_dpp v41, v53 row_shr:4 row_mask:0xf bank_mask:0xf// 0000000133C8: 7E5202FA FF011435
	v_mov_b32_dpp v42, v53 row_shl:4 row_mask:0xf bank_mask:0xf// 0000000133D0: 7E5402FA FF010435
	v_cndmask_b32_e64 v248, v53, v41, s[44:45]                 // 0000000133D8: D10000F8 00B25335
	v_cndmask_b32_e64 v249, v42, v53, s[44:45]                 // 0000000133E0: D10000F9 00B26B2A
	v_mov_b32_dpp v41, v248 row_shr:8 row_mask:0xf bank_mask:0xf// 0000000133E8: 7E5202FA FF0118F8
	v_mov_b32_dpp v42, v248 row_shl:8 row_mask:0xf bank_mask:0xf// 0000000133F0: 7E5402FA FF0108F8
	v_mov_b32_dpp v43, v249 row_shr:8 row_mask:0xf bank_mask:0xf// 0000000133F8: 7E5602FA FF0118F9
	v_mov_b32_dpp v44, v249 row_shl:8 row_mask:0xf bank_mask:0xf// 000000013400: 7E5802FA FF0108F9
	v_mov_b32_e32 v45, v248                                    // 000000013408: 7E5A03F8
	v_mov_b32_e32 v46, v249                                    // 00000001340C: 7E5C03F9
	v_cndmask_b32_e64 v248, v45, v41, s[42:43]                 // 000000013410: D10000F8 00AA532D
	v_cndmask_b32_e64 v250, v45, v42, s[78:79]                 // 000000013418: D10000FA 013A552D
	v_cndmask_b32_e64 v249, v46, v43, s[42:43]                 // 000000013420: D10000F9 00AA572E
	v_cndmask_b32_e64 v251, v46, v44, s[78:79]                 // 000000013428: D10000FB 013A592E
	v_mov_b32_dpp v41, v73 row_shr:4 row_mask:0xf bank_mask:0xf// 000000013430: 7E5202FA FF011449
	v_mov_b32_dpp v42, v73 row_shl:4 row_mask:0xf bank_mask:0xf// 000000013438: 7E5402FA FF010449
	v_cndmask_b32_e64 v252, v73, v41, s[44:45]                 // 000000013440: D10000FC 00B25349
	v_cndmask_b32_e64 v253, v42, v73, s[44:45]                 // 000000013448: D10000FD 00B2932A
	v_mov_b32_dpp v41, v252 row_shr:8 row_mask:0xf bank_mask:0xf// 000000013450: 7E5202FA FF0118FC
	v_mov_b32_dpp v42, v252 row_shl:8 row_mask:0xf bank_mask:0xf// 000000013458: 7E5402FA FF0108FC
	v_mov_b32_dpp v43, v253 row_shr:8 row_mask:0xf bank_mask:0xf// 000000013460: 7E5602FA FF0118FD
	v_mov_b32_dpp v44, v253 row_shl:8 row_mask:0xf bank_mask:0xf// 000000013468: 7E5802FA FF0108FD
	v_mov_b32_e32 v45, v252                                    // 000000013470: 7E5A03FC
	v_mov_b32_e32 v46, v253                                    // 000000013474: 7E5C03FD
	v_cndmask_b32_e64 v252, v45, v41, s[42:43]                 // 000000013478: D10000FC 00AA532D
	v_cndmask_b32_e64 v254, v45, v42, s[78:79]                 // 000000013480: D10000FE 013A552D
	v_cndmask_b32_e64 v253, v46, v43, s[42:43]                 // 000000013488: D10000FD 00AA572E
	v_cndmask_b32_e64 v255, v46, v44, s[78:79]                 // 000000013490: D10000FF 013A592E
	v_cvt_f32_i32_e32 v144, v144                               // 000000013498: 7F200B90
	v_cvt_f32_i32_e32 v145, v145                               // 00000001349C: 7F220B91
	v_cvt_f32_i32_e32 v146, v146                               // 0000000134A0: 7F240B92
	v_cvt_f32_i32_e32 v147, v147                               // 0000000134A4: 7F260B93
	v_cvt_f32_i32_e32 v148, v148                               // 0000000134A8: 7F280B94
	v_cvt_f32_i32_e32 v149, v149                               // 0000000134AC: 7F2A0B95
	v_cvt_f32_i32_e32 v150, v150                               // 0000000134B0: 7F2C0B96
	v_cvt_f32_i32_e32 v151, v151                               // 0000000134B4: 7F2E0B97
	v_cvt_f32_i32_e32 v152, v152                               // 0000000134B8: 7F300B98
	v_cvt_f32_i32_e32 v153, v153                               // 0000000134BC: 7F320B99
	v_cvt_f32_i32_e32 v154, v154                               // 0000000134C0: 7F340B9A
	v_cvt_f32_i32_e32 v155, v155                               // 0000000134C4: 7F360B9B
	v_cvt_f32_i32_e32 v156, v156                               // 0000000134C8: 7F380B9C
	v_cvt_f32_i32_e32 v157, v157                               // 0000000134CC: 7F3A0B9D
	v_cvt_f32_i32_e32 v158, v158                               // 0000000134D0: 7F3C0B9E
	v_cvt_f32_i32_e32 v159, v159                               // 0000000134D4: 7F3E0B9F
	v_mul_f32_e32 v144, v55, v144                              // 0000000134D8: 0B212137
	v_mul_f32_e32 v145, v55, v145                              // 0000000134DC: 0B232337
	v_mul_f32_e32 v146, v55, v146                              // 0000000134E0: 0B252537
	v_mul_f32_e32 v147, v55, v147                              // 0000000134E4: 0B272737
	v_mul_f32_e32 v148, v55, v148                              // 0000000134E8: 0B292937
	v_mul_f32_e32 v149, v55, v149                              // 0000000134EC: 0B2B2B37
	v_mul_f32_e32 v150, v55, v150                              // 0000000134F0: 0B2D2D37
	v_mul_f32_e32 v151, v55, v151                              // 0000000134F4: 0B2F2F37
	v_mul_f32_e32 v152, v55, v152                              // 0000000134F8: 0B313137
	v_mul_f32_e32 v153, v55, v153                              // 0000000134FC: 0B333337
	v_mul_f32_e32 v154, v55, v154                              // 000000013500: 0B353537
	v_mul_f32_e32 v155, v55, v155                              // 000000013504: 0B373737
	v_mul_f32_e32 v156, v55, v156                              // 000000013508: 0B393937
	v_mul_f32_e32 v157, v55, v157                              // 00000001350C: 0B3B3B37
	v_mul_f32_e32 v158, v55, v158                              // 000000013510: 0B3D3D37
	v_mul_f32_e32 v159, v55, v159                              // 000000013514: 0B3F3F37
	v_mul_f32_dpp v144, v248, v144 quad_perm:[0,0,0,0] row_mask:0xf bank_mask:0xf// 000000013518: 0B2120FA FF0000F8
	v_mul_f32_dpp v145, v248, v145 quad_perm:[1,1,1,1] row_mask:0xf bank_mask:0xf// 000000013520: 0B2322FA FF0055F8
	v_mul_f32_dpp v146, v248, v146 quad_perm:[2,2,2,2] row_mask:0xf bank_mask:0xf// 000000013528: 0B2524FA FF00AAF8
	v_mul_f32_dpp v147, v248, v147 quad_perm:[3,3,3,3] row_mask:0xf bank_mask:0xf// 000000013530: 0B2726FA FF00FFF8
	v_mul_f32_dpp v148, v249, v148 quad_perm:[0,0,0,0] row_mask:0xf bank_mask:0xf// 000000013538: 0B2928FA FF0000F9
	v_mul_f32_dpp v149, v249, v149 quad_perm:[1,1,1,1] row_mask:0xf bank_mask:0xf// 000000013540: 0B2B2AFA FF0055F9
	v_mul_f32_dpp v150, v249, v150 quad_perm:[2,2,2,2] row_mask:0xf bank_mask:0xf// 000000013548: 0B2D2CFA FF00AAF9
	v_mul_f32_dpp v151, v249, v151 quad_perm:[3,3,3,3] row_mask:0xf bank_mask:0xf// 000000013550: 0B2F2EFA FF00FFF9
	v_mul_f32_dpp v152, v250, v152 quad_perm:[0,0,0,0] row_mask:0xf bank_mask:0xf// 000000013558: 0B3130FA FF0000FA
	v_mul_f32_dpp v153, v250, v153 quad_perm:[1,1,1,1] row_mask:0xf bank_mask:0xf// 000000013560: 0B3332FA FF0055FA
	v_mul_f32_dpp v154, v250, v154 quad_perm:[2,2,2,2] row_mask:0xf bank_mask:0xf// 000000013568: 0B3534FA FF00AAFA
	v_mul_f32_dpp v155, v250, v155 quad_perm:[3,3,3,3] row_mask:0xf bank_mask:0xf// 000000013570: 0B3736FA FF00FFFA
	v_mul_f32_dpp v156, v251, v156 quad_perm:[0,0,0,0] row_mask:0xf bank_mask:0xf// 000000013578: 0B3938FA FF0000FB
	v_mul_f32_dpp v157, v251, v157 quad_perm:[1,1,1,1] row_mask:0xf bank_mask:0xf// 000000013580: 0B3B3AFA FF0055FB
	v_mul_f32_dpp v158, v251, v158 quad_perm:[2,2,2,2] row_mask:0xf bank_mask:0xf// 000000013588: 0B3D3CFA FF00AAFB
	v_mul_f32_dpp v159, v251, v159 quad_perm:[3,3,3,3] row_mask:0xf bank_mask:0xf// 000000013590: 0B3F3EFA FF00FFFB
	s_cmp_le_i32 s90, s89                                      // 000000013598: BF05595A
	s_cbranch_scc1 label_455B                                  // 00000001359C: BF850073
	v_mov_b32_e32 v69, 0xff800000                              // 0000000135A0: 7E8A02FF FF800000
	s_mov_b32 s60, s90                                         // 0000000135A8: BEBC005A
	s_add_u32 s61, s89, 0xff                                   // 0000000135AC: 803DFF59 000000FF
	v_mov_b32_e32 v41, s61                                     // 0000000135B4: 7E52023D
	v_lshrrev_b32_e32 v240, 4, v0                              // 0000000135B8: 21E00084
	v_mul_i32_i24_e32 v240, 4, v240                            // 0000000135BC: 0DE1E084
	v_add_u32_e32 v240, s60, v240                              // 0000000135C0: 69E1E03C
	v_and_b32_e32 v42, 15, v0                                  // 0000000135C4: 2654008F
	v_lshrrev_b32_e32 v42, 3, v42                              // 0000000135C8: 20545483
	s_mov_b32 s61, 2                                           // 0000000135CC: BEBD0082
	s_mul_i32 s60, 16, s7                                      // 0000000135D0: 923C0790
	v_add_u32_e32 v42, s61, v42                                // 0000000135D4: 6854543D
	v_sub_u32_e32 v240, v240, v42                              // 0000000135D8: 6BE055F0
	v_add_u32_e32 v240, s60, v240                              // 0000000135DC: 69E1E03C
	v_add_u32_e32 v241, 1, v240                                // 0000000135E0: 69E3E081
	v_add_u32_e32 v242, 2, v240                                // 0000000135E4: 69E5E082
	v_add_u32_e32 v243, 3, v240                                // 0000000135E8: 69E7E083
	v_cmp_le_u32_e64 s[40:41], v240, v41                       // 0000000135EC: D0CB0028 000253F0
	v_add_u32_e32 v240, 64, v240                               // 0000000135F4: 69E1E0C0
	s_nop 0                                                    // 0000000135F8: BF800000
	v_cndmask_b32_e64 v144, v69, v144, s[40:41]                // 0000000135FC: D1000090 00A32145
	v_cmp_le_u32_e64 s[40:41], v241, v41                       // 000000013604: D0CB0028 000253F1
	v_add_u32_e32 v241, 64, v241                               // 00000001360C: 69E3E2C0
	s_nop 0                                                    // 000000013610: BF800000
	v_cndmask_b32_e64 v145, v69, v145, s[40:41]                // 000000013614: D1000091 00A32345
	v_cmp_le_u32_e64 s[40:41], v242, v41                       // 00000001361C: D0CB0028 000253F2
	v_add_u32_e32 v242, 64, v242                               // 000000013624: 69E5E4C0
	s_nop 0                                                    // 000000013628: BF800000
	v_cndmask_b32_e64 v146, v69, v146, s[40:41]                // 00000001362C: D1000092 00A32545
	v_cmp_le_u32_e64 s[40:41], v243, v41                       // 000000013634: D0CB0028 000253F3
	v_add_u32_e32 v243, 64, v243                               // 00000001363C: 69E7E6C0
	s_nop 0                                                    // 000000013640: BF800000
	v_cndmask_b32_e64 v147, v69, v147, s[40:41]                // 000000013644: D1000093 00A32745
	v_cmp_le_u32_e64 s[40:41], v240, v41                       // 00000001364C: D0CB0028 000253F0
	v_add_u32_e32 v240, 64, v240                               // 000000013654: 69E1E0C0
	s_nop 0                                                    // 000000013658: BF800000
	v_cndmask_b32_e64 v148, v69, v148, s[40:41]                // 00000001365C: D1000094 00A32945
	v_cmp_le_u32_e64 s[40:41], v241, v41                       // 000000013664: D0CB0028 000253F1
	v_add_u32_e32 v241, 64, v241                               // 00000001366C: 69E3E2C0
	s_nop 0                                                    // 000000013670: BF800000
	v_cndmask_b32_e64 v149, v69, v149, s[40:41]                // 000000013674: D1000095 00A32B45
	v_cmp_le_u32_e64 s[40:41], v242, v41                       // 00000001367C: D0CB0028 000253F2
	v_add_u32_e32 v242, 64, v242                               // 000000013684: 69E5E4C0
	s_nop 0                                                    // 000000013688: BF800000
	v_cndmask_b32_e64 v150, v69, v150, s[40:41]                // 00000001368C: D1000096 00A32D45
	v_cmp_le_u32_e64 s[40:41], v243, v41                       // 000000013694: D0CB0028 000253F3
	v_add_u32_e32 v243, 64, v243                               // 00000001369C: 69E7E6C0
	s_nop 0                                                    // 0000000136A0: BF800000
	v_cndmask_b32_e64 v151, v69, v151, s[40:41]                // 0000000136A4: D1000097 00A32F45
	v_cmp_le_u32_e64 s[40:41], v240, v41                       // 0000000136AC: D0CB0028 000253F0
	v_add_u32_e32 v240, 64, v240                               // 0000000136B4: 69E1E0C0
	s_nop 0                                                    // 0000000136B8: BF800000
	v_cndmask_b32_e64 v152, v69, v152, s[40:41]                // 0000000136BC: D1000098 00A33145
	v_cmp_le_u32_e64 s[40:41], v241, v41                       // 0000000136C4: D0CB0028 000253F1
	v_add_u32_e32 v241, 64, v241                               // 0000000136CC: 69E3E2C0
	s_nop 0                                                    // 0000000136D0: BF800000
	v_cndmask_b32_e64 v153, v69, v153, s[40:41]                // 0000000136D4: D1000099 00A33345
	v_cmp_le_u32_e64 s[40:41], v242, v41                       // 0000000136DC: D0CB0028 000253F2
	v_add_u32_e32 v242, 64, v242                               // 0000000136E4: 69E5E4C0
	s_nop 0                                                    // 0000000136E8: BF800000
	v_cndmask_b32_e64 v154, v69, v154, s[40:41]                // 0000000136EC: D100009A 00A33545
	v_cmp_le_u32_e64 s[40:41], v243, v41                       // 0000000136F4: D0CB0028 000253F3
	v_add_u32_e32 v243, 64, v243                               // 0000000136FC: 69E7E6C0
	s_nop 0                                                    // 000000013700: BF800000
	v_cndmask_b32_e64 v155, v69, v155, s[40:41]                // 000000013704: D100009B 00A33745
	v_cmp_le_u32_e64 s[40:41], v240, v41                       // 00000001370C: D0CB0028 000253F0
	v_add_u32_e32 v240, 64, v240                               // 000000013714: 69E1E0C0
	s_nop 0                                                    // 000000013718: BF800000
	v_cndmask_b32_e64 v156, v69, v156, s[40:41]                // 00000001371C: D100009C 00A33945
	v_cmp_le_u32_e64 s[40:41], v241, v41                       // 000000013724: D0CB0028 000253F1
	v_add_u32_e32 v241, 64, v241                               // 00000001372C: 69E3E2C0
	s_nop 0                                                    // 000000013730: BF800000
	v_cndmask_b32_e64 v157, v69, v157, s[40:41]                // 000000013734: D100009D 00A33B45
	v_cmp_le_u32_e64 s[40:41], v242, v41                       // 00000001373C: D0CB0028 000253F2
	v_add_u32_e32 v242, 64, v242                               // 000000013744: 69E5E4C0
	s_nop 0                                                    // 000000013748: BF800000
	v_cndmask_b32_e64 v158, v69, v158, s[40:41]                // 00000001374C: D100009E 00A33D45
	v_cmp_le_u32_e64 s[40:41], v243, v41                       // 000000013754: D0CB0028 000253F3
	v_add_u32_e32 v243, 64, v243                               // 00000001375C: 69E7E6C0
	s_nop 0                                                    // 000000013760: BF800000
	v_cndmask_b32_e64 v159, v69, v159, s[40:41]                // 000000013764: D100009F 00A33F45

000000000001376c <label_455B>:
	s_add_u32 s90, s91, s90                                    // 00000001376C: 805A5A5B
	s_and_b32 s60, s72, 0xff                                   // 000000013770: 863CFF48 000000FF
	v_mov_b32_e32 v42, s60                                     // 000000013778: 7E54023C
	v_lshrrev_b32_e32 v240, 4, v0                              // 00000001377C: 21E00084
	v_mul_i32_i24_e32 v240, 4, v240                            // 000000013780: 0DE1E084
	s_mul_i32 s60, s7, 16                                      // 000000013784: 923C9007
	v_add_u32_e32 v240, s60, v240                              // 000000013788: 69E1E03C
	v_add_u32_e32 v241, 1, v240                                // 00000001378C: 69E3E081
	v_add_u32_e32 v242, 2, v240                                // 000000013790: 69E5E082
	v_add_u32_e32 v243, 3, v240                                // 000000013794: 69E7E083
	v_mov_b32_e32 v41, 0xff800000                              // 000000013798: 7E5202FF FF800000
	v_cmp_lt_u32_e64 s[40:41], v240, v42                       // 0000000137A0: D0C90028 000255F0
	v_add_u32_e32 v240, 64, v240                               // 0000000137A8: 69E1E0C0
	s_nop 0                                                    // 0000000137AC: BF800000
	v_cndmask_b32_e64 v144, v41, v144, s[40:41]                // 0000000137B0: D1000090 00A32129
	v_cmp_lt_u32_e64 s[40:41], v241, v42                       // 0000000137B8: D0C90028 000255F1
	v_add_u32_e32 v241, 64, v241                               // 0000000137C0: 69E3E2C0
	s_nop 0                                                    // 0000000137C4: BF800000
	v_cndmask_b32_e64 v145, v41, v145, s[40:41]                // 0000000137C8: D1000091 00A32329
	v_cmp_lt_u32_e64 s[40:41], v242, v42                       // 0000000137D0: D0C90028 000255F2
	v_add_u32_e32 v242, 64, v242                               // 0000000137D8: 69E5E4C0
	s_nop 0                                                    // 0000000137DC: BF800000
	v_cndmask_b32_e64 v146, v41, v146, s[40:41]                // 0000000137E0: D1000092 00A32529
	v_cmp_lt_u32_e64 s[40:41], v243, v42                       // 0000000137E8: D0C90028 000255F3
	v_add_u32_e32 v243, 64, v243                               // 0000000137F0: 69E7E6C0
	s_nop 0                                                    // 0000000137F4: BF800000
	v_cndmask_b32_e64 v147, v41, v147, s[40:41]                // 0000000137F8: D1000093 00A32729
	v_cmp_lt_u32_e64 s[40:41], v240, v42                       // 000000013800: D0C90028 000255F0
	v_add_u32_e32 v240, 64, v240                               // 000000013808: 69E1E0C0
	s_nop 0                                                    // 00000001380C: BF800000
	v_cndmask_b32_e64 v148, v41, v148, s[40:41]                // 000000013810: D1000094 00A32929
	v_cmp_lt_u32_e64 s[40:41], v241, v42                       // 000000013818: D0C90028 000255F1
	v_add_u32_e32 v241, 64, v241                               // 000000013820: 69E3E2C0
	s_nop 0                                                    // 000000013824: BF800000
	v_cndmask_b32_e64 v149, v41, v149, s[40:41]                // 000000013828: D1000095 00A32B29
	v_cmp_lt_u32_e64 s[40:41], v242, v42                       // 000000013830: D0C90028 000255F2
	v_add_u32_e32 v242, 64, v242                               // 000000013838: 69E5E4C0
	s_nop 0                                                    // 00000001383C: BF800000
	v_cndmask_b32_e64 v150, v41, v150, s[40:41]                // 000000013840: D1000096 00A32D29
	v_cmp_lt_u32_e64 s[40:41], v243, v42                       // 000000013848: D0C90028 000255F3
	v_add_u32_e32 v243, 64, v243                               // 000000013850: 69E7E6C0
	s_nop 0                                                    // 000000013854: BF800000
	v_cndmask_b32_e64 v151, v41, v151, s[40:41]                // 000000013858: D1000097 00A32F29
	v_cmp_lt_u32_e64 s[40:41], v240, v42                       // 000000013860: D0C90028 000255F0
	v_add_u32_e32 v240, 64, v240                               // 000000013868: 69E1E0C0
	s_nop 0                                                    // 00000001386C: BF800000
	v_cndmask_b32_e64 v152, v41, v152, s[40:41]                // 000000013870: D1000098 00A33129
	v_cmp_lt_u32_e64 s[40:41], v241, v42                       // 000000013878: D0C90028 000255F1
	v_add_u32_e32 v241, 64, v241                               // 000000013880: 69E3E2C0
	s_nop 0                                                    // 000000013884: BF800000
	v_cndmask_b32_e64 v153, v41, v153, s[40:41]                // 000000013888: D1000099 00A33329
	v_cmp_lt_u32_e64 s[40:41], v242, v42                       // 000000013890: D0C90028 000255F2
	v_add_u32_e32 v242, 64, v242                               // 000000013898: 69E5E4C0
	s_nop 0                                                    // 00000001389C: BF800000
	v_cndmask_b32_e64 v154, v41, v154, s[40:41]                // 0000000138A0: D100009A 00A33529
	v_cmp_lt_u32_e64 s[40:41], v243, v42                       // 0000000138A8: D0C90028 000255F3
	v_add_u32_e32 v243, 64, v243                               // 0000000138B0: 69E7E6C0
	s_nop 0                                                    // 0000000138B4: BF800000
	v_cndmask_b32_e64 v155, v41, v155, s[40:41]                // 0000000138B8: D100009B 00A33729
	v_cmp_lt_u32_e64 s[40:41], v240, v42                       // 0000000138C0: D0C90028 000255F0
	v_add_u32_e32 v240, 64, v240                               // 0000000138C8: 69E1E0C0
	s_nop 0                                                    // 0000000138CC: BF800000
	v_cndmask_b32_e64 v156, v41, v156, s[40:41]                // 0000000138D0: D100009C 00A33929
	v_cmp_lt_u32_e64 s[40:41], v241, v42                       // 0000000138D8: D0C90028 000255F1
	v_add_u32_e32 v241, 64, v241                               // 0000000138E0: 69E3E2C0
	s_nop 0                                                    // 0000000138E4: BF800000
	v_cndmask_b32_e64 v157, v41, v157, s[40:41]                // 0000000138E8: D100009D 00A33B29
	v_cmp_lt_u32_e64 s[40:41], v242, v42                       // 0000000138F0: D0C90028 000255F2
	v_add_u32_e32 v242, 64, v242                               // 0000000138F8: 69E5E4C0
	s_nop 0                                                    // 0000000138FC: BF800000
	v_cndmask_b32_e64 v158, v41, v158, s[40:41]                // 000000013900: D100009E 00A33D29
	v_cmp_lt_u32_e64 s[40:41], v243, v42                       // 000000013908: D0C90028 000255F3
	v_add_u32_e32 v243, 64, v243                               // 000000013910: 69E7E6C0
	s_nop 0                                                    // 000000013914: BF800000
	v_cndmask_b32_e64 v159, v41, v159, s[40:41]                // 000000013918: D100009F 00A33F29
	v_mov_b32_e32 v62, v144                                    // 000000013920: 7E7C0390
	v_max3_f32 v62, v144, v145, v62                            // 000000013924: D1D3003E 04FB2390
	v_max3_f32 v62, v146, v147, v62                            // 00000001392C: D1D3003E 04FB2792
	v_max3_f32 v62, v148, v149, v62                            // 000000013934: D1D3003E 04FB2B94
	v_max3_f32 v62, v150, v151, v62                            // 00000001393C: D1D3003E 04FB2F96
	v_max3_f32 v62, v152, v153, v62                            // 000000013944: D1D3003E 04FB3398
	v_max3_f32 v62, v154, v155, v62                            // 00000001394C: D1D3003E 04FB379A
	v_max3_f32 v62, v156, v157, v62                            // 000000013954: D1D3003E 04FB3B9C
	v_max3_f32 v62, v158, v159, v62                            // 00000001395C: D1D3003E 04FB3F9E
	ds_write_b32 v11, v62 offset:16896                         // 000000013964: D81A4200 00003E0B
	v_mul_f32_e32 v232, v64, v232                              // 00000001396C: 0BD1D140
	v_mul_f32_e32 v233, v64, v233                              // 000000013970: 0BD3D340
	v_mul_f32_e32 v234, v64, v234                              // 000000013974: 0BD5D540
	v_mul_f32_e32 v235, v64, v235                              // 000000013978: 0BD7D740
	v_mul_f32_e32 v236, v64, v236                              // 00000001397C: 0BD9D940
	v_mul_f32_e32 v237, v64, v237                              // 000000013980: 0BDBDB40
	v_mul_f32_e32 v238, v64, v238                              // 000000013984: 0BDDDD40
	v_mul_f32_e32 v239, v64, v239                              // 000000013988: 0BDFDF40
	s_waitcnt lgkmcnt(0)                                       // 00000001398C: BF8CC07F
	s_barrier                                                  // 000000013990: BF8A0000
	ds_read_b32 v80, v10 offset:16896                          // 000000013994: D86C4200 5000000A
	ds_read_b32 v81, v10 offset:16960                          // 00000001399C: D86C4240 5100000A
	ds_read_b32 v82, v10 offset:17024                          // 0000000139A4: D86C4280 5200000A
	ds_read_b32 v83, v10 offset:17088                          // 0000000139AC: D86C42C0 5300000A
	ds_read_b32 v84, v10 offset:17152                          // 0000000139B4: D86C4300 5400000A
	ds_read_b32 v85, v10 offset:17216                          // 0000000139BC: D86C4340 5500000A
	ds_read_b32 v86, v10 offset:17280                          // 0000000139C4: D86C4380 5600000A
	ds_read_b32 v87, v10 offset:17344                          // 0000000139CC: D86C43C0 5700000A
	ds_read_b32 v88, v10 offset:17408                          // 0000000139D4: D86C4400 5800000A
	ds_read_b32 v89, v10 offset:17472                          // 0000000139DC: D86C4440 5900000A
	ds_read_b32 v90, v10 offset:17536                          // 0000000139E4: D86C4480 5A00000A
	ds_read_b32 v91, v10 offset:17600                          // 0000000139EC: D86C44C0 5B00000A
	ds_read_b32 v92, v10 offset:17664                          // 0000000139F4: D86C4500 5C00000A
	ds_read_b32 v93, v10 offset:17728                          // 0000000139FC: D86C4540 5D00000A
	ds_read_b32 v94, v10 offset:17792                          // 000000013A04: D86C4580 5E00000A
	ds_read_b32 v95, v10 offset:17856                          // 000000013A0C: D86C45C0 5F00000A
	v_cvt_f32_i32_e32 v200, v200                               // 000000013A14: 7F900BC8
	v_cvt_f32_i32_e32 v201, v201                               // 000000013A18: 7F920BC9
	v_cvt_f32_i32_e32 v202, v202                               // 000000013A1C: 7F940BCA
	v_cvt_f32_i32_e32 v203, v203                               // 000000013A20: 7F960BCB
	v_cvt_f32_i32_e32 v204, v204                               // 000000013A24: 7F980BCC
	v_cvt_f32_i32_e32 v205, v205                               // 000000013A28: 7F9A0BCD
	v_cvt_f32_i32_e32 v206, v206                               // 000000013A2C: 7F9C0BCE
	v_cvt_f32_i32_e32 v207, v207                               // 000000013A30: 7F9E0BCF
	v_mul_f32_e32 v200, v59, v200                              // 000000013A34: 0B91913B
	v_mul_f32_e32 v201, v59, v201                              // 000000013A38: 0B93933B
	v_mul_f32_e32 v202, v59, v202                              // 000000013A3C: 0B95953B
	v_mul_f32_e32 v203, v59, v203                              // 000000013A40: 0B97973B
	v_mul_f32_e32 v204, v59, v204                              // 000000013A44: 0B99993B
	v_mul_f32_e32 v205, v59, v205                              // 000000013A48: 0B9B9B3B
	v_mul_f32_e32 v206, v59, v206                              // 000000013A4C: 0B9D9D3B
	v_mul_f32_e32 v207, v59, v207                              // 000000013A50: 0B9F9F3B
	s_waitcnt lgkmcnt(0)                                       // 000000013A54: BF8CC07F
	v_max3_f32 v62, v80, v81, v62                              // 000000013A58: D1D3003E 04FAA350
	v_max3_f32 v62, v82, v83, v62                              // 000000013A60: D1D3003E 04FAA752
	v_max3_f32 v62, v84, v85, v62                              // 000000013A68: D1D3003E 04FAAB54
	v_max3_f32 v62, v86, v87, v62                              // 000000013A70: D1D3003E 04FAAF56
	v_max3_f32 v62, v88, v89, v62                              // 000000013A78: D1D3003E 04FAB358
	v_max3_f32 v62, v90, v91, v62                              // 000000013A80: D1D3003E 04FAB75A
	v_max3_f32 v62, v92, v93, v62                              // 000000013A88: D1D3003E 04FABB5C
	v_max3_f32 v62, v94, v95, v62                              // 000000013A90: D1D3003E 04FABF5E
	v_mov_b32_e32 v41, 0xff800000                              // 000000013A98: 7E5202FF FF800000
	v_cmp_eq_u32_e64 s[40:41], v41, v15                        // 000000013AA0: D0CA0028 00021F29
	s_nop 1                                                    // 000000013AA8: BF800001
	v_max_f32_e32 v18, v62, v15                                // 000000013AAC: 16241F3E
	v_mul_f32_e32 v67, s64, v18                                // 000000013AB0: 0A862440
	v_fma_f32 v144, v144, s64, -v67                            // 000000013AB4: D1CB0090 850C8190
	v_fma_f32 v145, v145, s64, -v67                            // 000000013ABC: D1CB0091 850C8191
	v_fma_f32 v146, v146, s64, -v67                            // 000000013AC4: D1CB0092 850C8192
	v_fma_f32 v147, v147, s64, -v67                            // 000000013ACC: D1CB0093 850C8193
	v_fma_f32 v148, v148, s64, -v67                            // 000000013AD4: D1CB0094 850C8194
	v_fma_f32 v149, v149, s64, -v67                            // 000000013ADC: D1CB0095 850C8195
	v_fma_f32 v150, v150, s64, -v67                            // 000000013AE4: D1CB0096 850C8196
	v_fma_f32 v151, v151, s64, -v67                            // 000000013AEC: D1CB0097 850C8197
	v_fma_f32 v152, v152, s64, -v67                            // 000000013AF4: D1CB0098 850C8198
	v_fma_f32 v153, v153, s64, -v67                            // 000000013AFC: D1CB0099 850C8199
	v_fma_f32 v154, v154, s64, -v67                            // 000000013B04: D1CB009A 850C819A
	v_fma_f32 v155, v155, s64, -v67                            // 000000013B0C: D1CB009B 850C819B
	v_fma_f32 v156, v156, s64, -v67                            // 000000013B14: D1CB009C 850C819C
	v_fma_f32 v157, v157, s64, -v67                            // 000000013B1C: D1CB009D 850C819D
	v_fma_f32 v158, v158, s64, -v67                            // 000000013B24: D1CB009E 850C819E
	v_fma_f32 v159, v159, s64, -v67                            // 000000013B2C: D1CB009F 850C819F
	v_exp_f32_e32 v144, v144                                   // 000000013B34: 7F204190
	v_exp_f32_e32 v145, v145                                   // 000000013B38: 7F224191
	v_exp_f32_e32 v146, v146                                   // 000000013B3C: 7F244192
	v_exp_f32_e32 v147, v147                                   // 000000013B40: 7F264193
	v_exp_f32_e32 v148, v148                                   // 000000013B44: 7F284194
	v_exp_f32_e32 v149, v149                                   // 000000013B48: 7F2A4195
	v_exp_f32_e32 v150, v150                                   // 000000013B4C: 7F2C4196
	v_exp_f32_e32 v151, v151                                   // 000000013B50: 7F2E4197
	v_exp_f32_e32 v152, v152                                   // 000000013B54: 7F304198
	v_exp_f32_e32 v153, v153                                   // 000000013B58: 7F324199
	v_exp_f32_e32 v154, v154                                   // 000000013B5C: 7F34419A
	v_exp_f32_e32 v155, v155                                   // 000000013B60: 7F36419B
	v_exp_f32_e32 v156, v156                                   // 000000013B64: 7F38419C
	v_exp_f32_e32 v157, v157                                   // 000000013B68: 7F3A419D
	v_exp_f32_e32 v158, v158                                   // 000000013B6C: 7F3C419E
	v_exp_f32_e32 v159, v159                                   // 000000013B70: 7F3E419F
	v_mul_f32_dpp v240, v252, v144 quad_perm:[0,0,0,0] row_mask:0xf bank_mask:0xf// 000000013B74: 0BE120FA FF0000FC
	v_mul_f32_dpp v241, v252, v145 quad_perm:[1,1,1,1] row_mask:0xf bank_mask:0xf// 000000013B7C: 0BE322FA FF0055FC
	v_mul_f32_dpp v242, v252, v146 quad_perm:[2,2,2,2] row_mask:0xf bank_mask:0xf// 000000013B84: 0BE524FA FF00AAFC
	v_mul_f32_dpp v243, v252, v147 quad_perm:[3,3,3,3] row_mask:0xf bank_mask:0xf// 000000013B8C: 0BE726FA FF00FFFC
	v_mul_f32_dpp v244, v253, v148 quad_perm:[0,0,0,0] row_mask:0xf bank_mask:0xf// 000000013B94: 0BE928FA FF0000FD
	v_mul_f32_dpp v245, v253, v149 quad_perm:[1,1,1,1] row_mask:0xf bank_mask:0xf// 000000013B9C: 0BEB2AFA FF0055FD
	v_mul_f32_dpp v246, v253, v150 quad_perm:[2,2,2,2] row_mask:0xf bank_mask:0xf// 000000013BA4: 0BED2CFA FF00AAFD
	v_mul_f32_dpp v247, v253, v151 quad_perm:[3,3,3,3] row_mask:0xf bank_mask:0xf// 000000013BAC: 0BEF2EFA FF00FFFD
	v_mul_f32_dpp v248, v254, v152 quad_perm:[0,0,0,0] row_mask:0xf bank_mask:0xf// 000000013BB4: 0BF130FA FF0000FE
	v_mul_f32_dpp v249, v254, v153 quad_perm:[1,1,1,1] row_mask:0xf bank_mask:0xf// 000000013BBC: 0BF332FA FF0055FE
	v_mul_f32_dpp v250, v254, v154 quad_perm:[2,2,2,2] row_mask:0xf bank_mask:0xf// 000000013BC4: 0BF534FA FF00AAFE
	v_mul_f32_dpp v251, v254, v155 quad_perm:[3,3,3,3] row_mask:0xf bank_mask:0xf// 000000013BCC: 0BF736FA FF00FFFE
	v_mul_f32_dpp v252, v255, v156 quad_perm:[0,0,0,0] row_mask:0xf bank_mask:0xf// 000000013BD4: 0BF938FA FF0000FF
	v_mul_f32_dpp v253, v255, v157 quad_perm:[1,1,1,1] row_mask:0xf bank_mask:0xf// 000000013BDC: 0BFB3AFA FF0055FF
	v_mul_f32_dpp v254, v255, v158 quad_perm:[2,2,2,2] row_mask:0xf bank_mask:0xf// 000000013BE4: 0BFD3CFA FF00AAFF
	v_mul_f32_dpp v255, v255, v159 quad_perm:[3,3,3,3] row_mask:0xf bank_mask:0xf// 000000013BEC: 0BFF3EFA FF00FFFF
	v_mov_b32_e32 v62, 0x358637bd                              // 000000013BF4: 7E7C02FF 358637BD
	v_max3_f32 v62, |v240|, |v241|, v62                        // 000000013BFC: D1D3033E 04FBE3F0
	v_max3_f32 v62, |v242|, |v243|, v62                        // 000000013C04: D1D3033E 04FBE7F2
	v_max3_f32 v62, |v244|, |v245|, v62                        // 000000013C0C: D1D3033E 04FBEBF4
	v_max3_f32 v62, |v246|, |v247|, v62                        // 000000013C14: D1D3033E 04FBEFF6
	v_max3_f32 v62, |v248|, |v249|, v62                        // 000000013C1C: D1D3033E 04FBF3F8
	v_max3_f32 v62, |v250|, |v251|, v62                        // 000000013C24: D1D3033E 04FBF7FA
	v_max3_f32 v62, |v252|, |v253|, v62                        // 000000013C2C: D1D3033E 04FBFBFC
	v_max3_f32 v62, |v254|, |v255|, v62                        // 000000013C34: D1D3033E 04FBFFFE
	ds_write_b32 v11, v62 offset:20992                         // 000000013C3C: D81A5200 00003E0B
	v_sub_f32_e32 v64, v15, v18                                // 000000013C44: 0480250F
	v_cndmask_b32_e64 v64, v64, 0, s[40:41]                    // 000000013C48: D1000040 00A10140
	v_mov_b32_e32 v15, v18                                     // 000000013C50: 7E1E0312
	v_mul_f32_e32 v64, s64, v64                                // 000000013C54: 0A808040
	v_exp_f32_e32 v64, v64                                     // 000000013C58: 7E804140
	s_waitcnt lgkmcnt(0)                                       // 000000013C5C: BF8CC07F
	s_barrier                                                  // 000000013C60: BF8A0000
	ds_read_b32 v80, v10 offset:20992                          // 000000013C64: D86C5200 5000000A
	ds_read_b32 v81, v10 offset:21056                          // 000000013C6C: D86C5240 5100000A
	ds_read_b32 v82, v10 offset:21120                          // 000000013C74: D86C5280 5200000A
	ds_read_b32 v83, v10 offset:21184                          // 000000013C7C: D86C52C0 5300000A
	ds_read_b32 v84, v10 offset:21248                          // 000000013C84: D86C5300 5400000A
	ds_read_b32 v85, v10 offset:21312                          // 000000013C8C: D86C5340 5500000A
	ds_read_b32 v86, v10 offset:21376                          // 000000013C94: D86C5380 5600000A
	ds_read_b32 v87, v10 offset:21440                          // 000000013C9C: D86C53C0 5700000A
	ds_read_b32 v88, v10 offset:21504                          // 000000013CA4: D86C5400 5800000A
	ds_read_b32 v89, v10 offset:21568                          // 000000013CAC: D86C5440 5900000A
	ds_read_b32 v90, v10 offset:21632                          // 000000013CB4: D86C5480 5A00000A
	ds_read_b32 v91, v10 offset:21696                          // 000000013CBC: D86C54C0 5B00000A
	ds_read_b32 v92, v10 offset:21760                          // 000000013CC4: D86C5500 5C00000A
	ds_read_b32 v93, v10 offset:21824                          // 000000013CCC: D86C5540 5D00000A
	ds_read_b32 v94, v10 offset:21888                          // 000000013CD4: D86C5580 5E00000A
	ds_read_b32 v95, v10 offset:21952                          // 000000013CDC: D86C55C0 5F00000A
	v_mul_f32_e32 v48, v64, v48                                // 000000013CE4: 0A606140
	v_mov_b32_e32 v18, v144                                    // 000000013CE8: 7E240390
	v_add_f32_e32 v18, v145, v18                               // 000000013CEC: 02242591
	v_add_f32_e32 v18, v146, v18                               // 000000013CF0: 02242592
	v_add_f32_e32 v18, v147, v18                               // 000000013CF4: 02242593
	v_add_f32_e32 v18, v148, v18                               // 000000013CF8: 02242594
	v_add_f32_e32 v18, v149, v18                               // 000000013CFC: 02242595
	v_add_f32_e32 v18, v150, v18                               // 000000013D00: 02242596
	v_add_f32_e32 v18, v151, v18                               // 000000013D04: 02242597
	v_add_f32_e32 v18, v152, v18                               // 000000013D08: 02242598
	v_add_f32_e32 v18, v153, v18                               // 000000013D0C: 02242599
	v_add_f32_e32 v18, v154, v18                               // 000000013D10: 0224259A
	v_add_f32_e32 v18, v155, v18                               // 000000013D14: 0224259B
	v_add_f32_e32 v18, v156, v18                               // 000000013D18: 0224259C
	v_add_f32_e32 v18, v157, v18                               // 000000013D1C: 0224259D
	v_add_f32_e32 v18, v158, v18                               // 000000013D20: 0224259E
	v_add_f32_e32 v18, v159, v18                               // 000000013D24: 0224259F
	v_add_f32_e32 v48, v18, v48                                // 000000013D28: 02606112
	s_waitcnt lgkmcnt(0)                                       // 000000013D2C: BF8CC07F
	v_max3_f32 v62, |v80|, |v81|, v62                          // 000000013D30: D1D3033E 04FAA350
	v_max3_f32 v62, |v82|, |v83|, v62                          // 000000013D38: D1D3033E 04FAA752
	v_max3_f32 v62, |v84|, |v85|, v62                          // 000000013D40: D1D3033E 04FAAB54
	v_max3_f32 v62, |v86|, |v87|, v62                          // 000000013D48: D1D3033E 04FAAF56
	v_max3_f32 v62, |v88|, |v89|, v62                          // 000000013D50: D1D3033E 04FAB358
	v_max3_f32 v62, |v90|, |v91|, v62                          // 000000013D58: D1D3033E 04FAB75A
	v_max3_f32 v62, |v92|, |v93|, v62                          // 000000013D60: D1D3033E 04FABB5C
	v_max3_f32 v62, |v94|, |v95|, v62                          // 000000013D68: D1D3033E 04FABF5E
	s_nop 2                                                    // 000000013D70: BF800002
	v_rcp_f32_e32 v62, v62                                     // 000000013D74: 7E7C453E
	s_nop 1                                                    // 000000013D78: BF800001
	v_mul_f32_e32 v62, 0x42fe0000, v62                         // 000000013D7C: 0A7C7CFF 42FE0000
	v_mul_f32_e32 v144, v62, v240                              // 000000013D84: 0B21E13E
	v_mul_f32_e32 v145, v62, v241                              // 000000013D88: 0B23E33E
	v_mul_f32_e32 v146, v62, v242                              // 000000013D8C: 0B25E53E
	v_mul_f32_e32 v147, v62, v243                              // 000000013D90: 0B27E73E
	v_mul_f32_e32 v148, v62, v244                              // 000000013D94: 0B29E93E
	v_mul_f32_e32 v149, v62, v245                              // 000000013D98: 0B2BEB3E
	v_mul_f32_e32 v150, v62, v246                              // 000000013D9C: 0B2DED3E
	v_mul_f32_e32 v151, v62, v247                              // 000000013DA0: 0B2FEF3E
	v_mul_f32_e32 v152, v62, v248                              // 000000013DA4: 0B31F13E
	v_mul_f32_e32 v153, v62, v249                              // 000000013DA8: 0B33F33E
	v_mul_f32_e32 v154, v62, v250                              // 000000013DAC: 0B35F53E
	v_mul_f32_e32 v155, v62, v251                              // 000000013DB0: 0B37F73E
	v_mul_f32_e32 v156, v62, v252                              // 000000013DB4: 0B39F93E
	v_mul_f32_e32 v157, v62, v253                              // 000000013DB8: 0B3BFB3E
	v_mul_f32_e32 v158, v62, v254                              // 000000013DBC: 0B3DFD3E
	v_mul_f32_e32 v159, v62, v255                              // 000000013DC0: 0B3FFF3E
	v_cvt_i32_f32_e32 v144, v144                               // 000000013DC4: 7F201190
	v_cvt_i32_f32_e32 v145, v145                               // 000000013DC8: 7F221191
	v_cvt_i32_f32_e32 v146, v146                               // 000000013DCC: 7F241192
	v_cvt_i32_f32_e32 v147, v147                               // 000000013DD0: 7F261193
	v_cvt_i32_f32_e32 v148, v148                               // 000000013DD4: 7F281194
	v_cvt_i32_f32_e32 v149, v149                               // 000000013DD8: 7F2A1195
	v_cvt_i32_f32_e32 v150, v150                               // 000000013DDC: 7F2C1196
	v_cvt_i32_f32_e32 v151, v151                               // 000000013DE0: 7F2E1197
	v_cvt_i32_f32_e32 v152, v152                               // 000000013DE4: 7F301198
	v_cvt_i32_f32_e32 v153, v153                               // 000000013DE8: 7F321199
	v_cvt_i32_f32_e32 v154, v154                               // 000000013DEC: 7F34119A
	v_cvt_i32_f32_e32 v155, v155                               // 000000013DF0: 7F36119B
	v_cvt_i32_f32_e32 v156, v156                               // 000000013DF4: 7F38119C
	v_cvt_i32_f32_e32 v157, v157                               // 000000013DF8: 7F3A119D
	v_cvt_i32_f32_e32 v158, v158                               // 000000013DFC: 7F3C119E
	v_cvt_i32_f32_e32 v159, v159                               // 000000013E00: 7F3E119F
	v_perm_b32 v144, v145, v144, s53                           // 000000013E04: D1ED0090 00D72191
	v_perm_b32 v144, v146, v144, s54                           // 000000013E0C: D1ED0090 00DB2192
	v_perm_b32 v144, v147, v144, s55                           // 000000013E14: D1ED0090 00DF2193
	v_perm_b32 v145, v149, v148, s53                           // 000000013E1C: D1ED0091 00D72995
	v_perm_b32 v145, v150, v145, s54                           // 000000013E24: D1ED0091 00DB2396
	v_perm_b32 v145, v151, v145, s55                           // 000000013E2C: D1ED0091 00DF2397
	v_perm_b32 v146, v153, v152, s53                           // 000000013E34: D1ED0092 00D73199
	v_perm_b32 v146, v154, v146, s54                           // 000000013E3C: D1ED0092 00DB259A
	v_perm_b32 v146, v155, v146, s55                           // 000000013E44: D1ED0092 00DF259B
	v_perm_b32 v147, v157, v156, s53                           // 000000013E4C: D1ED0093 00D7399D
	v_perm_b32 v147, v158, v147, s54                           // 000000013E54: D1ED0093 00DB279E
	v_perm_b32 v147, v159, v147, s55                           // 000000013E5C: D1ED0093 00DF279F
	ds_write_b32 v13, v144 offset:29184                        // 000000013E64: D81A7200 0000900D
	ds_write_b32 v13, v145 offset:30208                        // 000000013E6C: D81A7600 0000910D
	ds_write_b32 v13, v146 offset:31232                        // 000000013E74: D81A7A00 0000920D
	ds_write_b32 v13, v147 offset:32256                        // 000000013E7C: D81A7E00 0000930D
	v_add_f32_e32 v232, v232, v200                             // 000000013E84: 03D191E8
	v_add_f32_e32 v233, v233, v201                             // 000000013E88: 03D393E9
	v_add_f32_e32 v234, v234, v202                             // 000000013E8C: 03D595EA
	v_add_f32_e32 v235, v235, v203                             // 000000013E90: 03D797EB
	v_add_f32_e32 v236, v236, v204                             // 000000013E94: 03D999EC
	v_add_f32_e32 v237, v237, v205                             // 000000013E98: 03DB9BED
	v_add_f32_e32 v238, v238, v206                             // 000000013E9C: 03DD9DEE
	v_add_f32_e32 v239, v239, v207                             // 000000013EA0: 03DF9FEF
	v_rcp_f32_e32 v59, v62                                     // 000000013EA4: 7E76453E
	s_waitcnt lgkmcnt(0)                                       // 000000013EA8: BF8CC07F
	s_barrier                                                  // 000000013EAC: BF8A0000
	ds_read_b64 v[144:145], v12 offset:29184                   // 000000013EB0: D8EC7200 9000000C
	ds_read_b64 v[146:147], v12 offset:29312                   // 000000013EB8: D8EC7280 9200000C
	ds_read_b64 v[148:149], v12 offset:30208                   // 000000013EC0: D8EC7600 9400000C
	ds_read_b64 v[150:151], v12 offset:30336                   // 000000013EC8: D8EC7680 9600000C
	ds_read_b64 v[152:153], v12 offset:31232                   // 000000013ED0: D8EC7A00 9800000C
	ds_read_b64 v[154:155], v12 offset:31360                   // 000000013ED8: D8EC7A80 9A00000C
	ds_read_b64 v[156:157], v12 offset:32256                   // 000000013EE0: D8EC7E00 9C00000C
	ds_read_b64 v[158:159], v12 offset:32384                   // 000000013EE8: D8EC7E80 9E00000C
	s_waitcnt vmcnt(0)                                         // 000000013EF0: BF8C0F70
	s_barrier                                                  // 000000013EF4: BF8A0000
	v_mfma_i32_16x16x32_i8 v[192:195], a[96:97], v[128:129], 0 // 000000013EF8: D3D700C0 0A030160
	v_mfma_i32_16x16x32_i8 v[192:195], a[98:99], v[130:131], v[192:195]// 000000013F00: D3D700C0 0F030562
	v_mfma_i32_16x16x32_i8 v[192:195], a[100:101], v[132:133], v[192:195]// 000000013F08: D3D700C0 0F030964
	v_mfma_i32_16x16x32_i8 v[192:195], a[102:103], v[134:135], v[192:195]// 000000013F10: D3D700C0 0F030D66
	v_mfma_i32_16x16x32_i8 v[192:195], a[104:105], v[136:137], v[192:195]// 000000013F18: D3D700C0 0F031168
	v_mfma_i32_16x16x32_i8 v[192:195], a[106:107], v[138:139], v[192:195]// 000000013F20: D3D700C0 0F03156A
	v_mfma_i32_16x16x32_i8 v[192:195], a[108:109], v[140:141], v[192:195]// 000000013F28: D3D700C0 0F03196C
	v_mfma_i32_16x16x32_i8 v[192:195], a[110:111], v[142:143], v[192:195]// 000000013F30: D3D700C0 0F031D6E
	v_mfma_i32_16x16x32_i8 v[196:199], a[112:113], v[128:129], 0// 000000013F38: D3D700C4 0A030170
	v_mfma_i32_16x16x32_i8 v[196:199], a[114:115], v[130:131], v[196:199]// 000000013F40: D3D700C4 0F130572
	v_mfma_i32_16x16x32_i8 v[196:199], a[116:117], v[132:133], v[196:199]// 000000013F48: D3D700C4 0F130974
	v_mfma_i32_16x16x32_i8 v[196:199], a[118:119], v[134:135], v[196:199]// 000000013F50: D3D700C4 0F130D76
	v_mfma_i32_16x16x32_i8 v[196:199], a[120:121], v[136:137], v[196:199]// 000000013F58: D3D700C4 0F131178
	v_mfma_i32_16x16x32_i8 v[196:199], a[122:123], v[138:139], v[196:199]// 000000013F60: D3D700C4 0F13157A
	v_mfma_i32_16x16x32_i8 v[196:199], a[124:125], v[140:141], v[196:199]// 000000013F68: D3D700C4 0F13197C
	v_mfma_i32_16x16x32_i8 v[196:199], a[126:127], v[142:143], v[196:199]// 000000013F70: D3D700C4 0F131D7E
	v_mfma_i32_16x16x32_i8 v[200:203], a[96:97], v[144:145], 0 // 000000013F78: D3D700C8 0A032160
	v_mfma_i32_16x16x32_i8 v[200:203], a[98:99], v[146:147], v[200:203]// 000000013F80: D3D700C8 0F232562
	v_mfma_i32_16x16x32_i8 v[200:203], a[100:101], v[148:149], v[200:203]// 000000013F88: D3D700C8 0F232964
	v_mfma_i32_16x16x32_i8 v[200:203], a[102:103], v[150:151], v[200:203]// 000000013F90: D3D700C8 0F232D66
	v_mfma_i32_16x16x32_i8 v[200:203], a[104:105], v[152:153], v[200:203]// 000000013F98: D3D700C8 0F233168
	v_mfma_i32_16x16x32_i8 v[200:203], a[106:107], v[154:155], v[200:203]// 000000013FA0: D3D700C8 0F23356A
	v_mfma_i32_16x16x32_i8 v[200:203], a[108:109], v[156:157], v[200:203]// 000000013FA8: D3D700C8 0F23396C
	v_mfma_i32_16x16x32_i8 v[200:203], a[110:111], v[158:159], v[200:203]// 000000013FB0: D3D700C8 0F233D6E
	v_mfma_i32_16x16x32_i8 v[204:207], a[112:113], v[144:145], 0// 000000013FB8: D3D700CC 0A032170
	v_mfma_i32_16x16x32_i8 v[204:207], a[114:115], v[146:147], v[204:207]// 000000013FC0: D3D700CC 0F332572
	v_mfma_i32_16x16x32_i8 v[204:207], a[116:117], v[148:149], v[204:207]// 000000013FC8: D3D700CC 0F332974
	v_mfma_i32_16x16x32_i8 v[204:207], a[118:119], v[150:151], v[204:207]// 000000013FD0: D3D700CC 0F332D76
	v_mfma_i32_16x16x32_i8 v[204:207], a[120:121], v[152:153], v[204:207]// 000000013FD8: D3D700CC 0F333178
	v_mfma_i32_16x16x32_i8 v[204:207], a[122:123], v[154:155], v[204:207]// 000000013FE0: D3D700CC 0F33357A
	v_mfma_i32_16x16x32_i8 v[204:207], a[124:125], v[156:157], v[204:207]// 000000013FE8: D3D700CC 0F33397C
	v_mfma_i32_16x16x32_i8 v[204:207], a[126:127], v[158:159], v[204:207]// 000000013FF0: D3D700CC 0F333D7E
	s_nop 4                                                    // 000000013FF8: BF800004
	s_branch label_4780                                        // 000000013FFC: BF820000

0000000000014000 <label_4780>:
	s_mov_b32 s60, 0xa0                                        // 000000014000: BEBC00FF 000000A0
	s_cmp_eq_i32 s88, s60                                      // 000000014008: BF003C58
	s_cbranch_scc1 label_48C1                                  // 00000001400C: BF85013D
	v_mul_f32_e32 v224, v63, v224                              // 000000014010: 0BC1C13F
	v_mul_f32_e32 v225, v63, v225                              // 000000014014: 0BC3C33F
	v_mul_f32_e32 v226, v63, v226                              // 000000014018: 0BC5C53F
	v_mul_f32_e32 v227, v63, v227                              // 00000001401C: 0BC7C73F
	v_mul_f32_e32 v228, v63, v228                              // 000000014020: 0BC9C93F
	v_mul_f32_e32 v229, v63, v229                              // 000000014024: 0BCBCB3F
	v_mul_f32_e32 v230, v63, v230                              // 000000014028: 0BCDCD3F
	v_mul_f32_e32 v231, v63, v231                              // 00000001402C: 0BCFCF3F
	v_cvt_f32_i32_e32 v192, v192                               // 000000014030: 7F800BC0
	v_cvt_f32_i32_e32 v193, v193                               // 000000014034: 7F820BC1
	v_cvt_f32_i32_e32 v194, v194                               // 000000014038: 7F840BC2
	v_cvt_f32_i32_e32 v195, v195                               // 00000001403C: 7F860BC3
	v_cvt_f32_i32_e32 v196, v196                               // 000000014040: 7F880BC4
	v_cvt_f32_i32_e32 v197, v197                               // 000000014044: 7F8A0BC5
	v_cvt_f32_i32_e32 v198, v198                               // 000000014048: 7F8C0BC6
	v_cvt_f32_i32_e32 v199, v199                               // 00000001404C: 7F8E0BC7
	v_mul_f32_e32 v192, v58, v192                              // 000000014050: 0B81813A
	v_mul_f32_e32 v193, v58, v193                              // 000000014054: 0B83833A
	v_mul_f32_e32 v194, v58, v194                              // 000000014058: 0B85853A
	v_mul_f32_e32 v195, v58, v195                              // 00000001405C: 0B87873A
	v_mul_f32_e32 v196, v58, v196                              // 000000014060: 0B89893A
	v_mul_f32_e32 v197, v58, v197                              // 000000014064: 0B8B8B3A
	v_mul_f32_e32 v198, v58, v198                              // 000000014068: 0B8D8D3A
	v_mul_f32_e32 v199, v58, v199                              // 00000001406C: 0B8F8F3A
	v_add_f32_e32 v224, v224, v192                             // 000000014070: 03C181E0
	v_add_f32_e32 v225, v225, v193                             // 000000014074: 03C383E1
	v_add_f32_e32 v226, v226, v194                             // 000000014078: 03C585E2
	v_add_f32_e32 v227, v227, v195                             // 00000001407C: 03C787E3
	v_add_f32_e32 v228, v228, v196                             // 000000014080: 03C989E4
	v_add_f32_e32 v229, v229, v197                             // 000000014084: 03CB8BE5
	v_add_f32_e32 v230, v230, v198                             // 000000014088: 03CD8DE6
	v_add_f32_e32 v231, v231, v199                             // 00000001408C: 03CF8FE7
	ds_write_b32 v11, v47 offset:16896                         // 000000014090: D81A4200 00002F0B
	s_waitcnt lgkmcnt(0)                                       // 000000014098: BF8CC07F
	s_barrier                                                  // 00000001409C: BF8A0000
	ds_read_b32 v80, v10 offset:16896                          // 0000000140A0: D86C4200 5000000A
	ds_read_b32 v81, v10 offset:16960                          // 0000000140A8: D86C4240 5100000A
	ds_read_b32 v82, v10 offset:17024                          // 0000000140B0: D86C4280 5200000A
	ds_read_b32 v83, v10 offset:17088                          // 0000000140B8: D86C42C0 5300000A
	ds_read_b32 v84, v10 offset:17152                          // 0000000140C0: D86C4300 5400000A
	ds_read_b32 v85, v10 offset:17216                          // 0000000140C8: D86C4340 5500000A
	ds_read_b32 v86, v10 offset:17280                          // 0000000140D0: D86C4380 5600000A
	ds_read_b32 v87, v10 offset:17344                          // 0000000140D8: D86C43C0 5700000A
	ds_read_b32 v88, v10 offset:17408                          // 0000000140E0: D86C4400 5800000A
	ds_read_b32 v89, v10 offset:17472                          // 0000000140E8: D86C4440 5900000A
	ds_read_b32 v90, v10 offset:17536                          // 0000000140F0: D86C4480 5A00000A
	ds_read_b32 v91, v10 offset:17600                          // 0000000140F8: D86C44C0 5B00000A
	ds_read_b32 v92, v10 offset:17664                          // 000000014100: D86C4500 5C00000A
	ds_read_b32 v93, v10 offset:17728                          // 000000014108: D86C4540 5D00000A
	ds_read_b32 v94, v10 offset:17792                          // 000000014110: D86C4580 5E00000A
	ds_read_b32 v95, v10 offset:17856                          // 000000014118: D86C45C0 5F00000A
	s_waitcnt lgkmcnt(0)                                       // 000000014120: BF8CC07F
	v_mov_b32_e32 v47, 0                                       // 000000014124: 7E5E0280
	v_add_f32_e32 v47, v80, v47                                // 000000014128: 025E5F50
	v_add_f32_e32 v47, v81, v47                                // 00000001412C: 025E5F51
	v_add_f32_e32 v47, v82, v47                                // 000000014130: 025E5F52
	v_add_f32_e32 v47, v83, v47                                // 000000014134: 025E5F53
	v_add_f32_e32 v47, v84, v47                                // 000000014138: 025E5F54
	v_add_f32_e32 v47, v85, v47                                // 00000001413C: 025E5F55
	v_add_f32_e32 v47, v86, v47                                // 000000014140: 025E5F56
	v_add_f32_e32 v47, v87, v47                                // 000000014144: 025E5F57
	v_add_f32_e32 v47, v88, v47                                // 000000014148: 025E5F58
	v_add_f32_e32 v47, v89, v47                                // 00000001414C: 025E5F59
	v_add_f32_e32 v47, v90, v47                                // 000000014150: 025E5F5A
	v_add_f32_e32 v47, v91, v47                                // 000000014154: 025E5F5B
	v_add_f32_e32 v47, v92, v47                                // 000000014158: 025E5F5C
	v_add_f32_e32 v47, v93, v47                                // 00000001415C: 025E5F5D
	v_add_f32_e32 v47, v94, v47                                // 000000014160: 025E5F5E
	v_add_f32_e32 v47, v95, v47                                // 000000014164: 025E5F5F
	s_nop 1                                                    // 000000014168: BF800001
	v_rcp_f32_e32 v47, v47                                     // 00000001416C: 7E5E452F
	s_nop 1                                                    // 000000014170: BF800001
	v_mul_f32_e32 v224, v47, v224                              // 000000014174: 0BC1C12F
	v_mul_f32_e32 v225, v47, v225                              // 000000014178: 0BC3C32F
	v_mul_f32_e32 v226, v47, v226                              // 00000001417C: 0BC5C52F
	v_mul_f32_e32 v227, v47, v227                              // 000000014180: 0BC7C72F
	v_mul_f32_e32 v228, v47, v228                              // 000000014184: 0BC9C92F
	v_mul_f32_e32 v229, v47, v229                              // 000000014188: 0BCBCB2F
	v_mul_f32_e32 v230, v47, v230                              // 00000001418C: 0BCDCD2F
	v_mul_f32_e32 v231, v47, v231                              // 000000014190: 0BCFCF2F
	v_cvt_pkrtz_f16_f32 v41, v224, v225                        // 000000014194: D2960029 0003C3E0
	v_mov_b32_e32 v224, v41                                    // 00000001419C: 7FC00329
	v_cvt_pkrtz_f16_f32 v41, v226, v227                        // 0000000141A0: D2960029 0003C7E2
	v_mov_b32_e32 v225, v41                                    // 0000000141A8: 7FC20329
	v_cvt_pkrtz_f16_f32 v41, v228, v229                        // 0000000141AC: D2960029 0003CBE4
	v_mov_b32_e32 v226, v41                                    // 0000000141B4: 7FC40329
	v_cvt_pkrtz_f16_f32 v41, v230, v231                        // 0000000141B8: D2960029 0003CFE6
	v_mov_b32_e32 v227, v41                                    // 0000000141C0: 7FC60329
	s_nop 1                                                    // 0000000141C4: BF800001
	v_lshrrev_b32_e32 v41, 4, v0                               // 0000000141C8: 20520084
	v_mul_i32_i24_e32 v45, 34, v41                             // 0000000141CC: 0C5A52A2
	v_and_b32_e32 v41, 15, v0                                  // 0000000141D0: 2652008F
	v_mul_i32_i24_e32 v42, 2, v41                              // 0000000141D4: 0C545282
	v_add_u32_e32 v45, v42, v45                                // 0000000141D8: 685A5B2A
	s_mul_i32 s60, s7, 0x88                                    // 0000000141DC: 923CFF07 00000088
	v_add_u32_e32 v45, s60, v45                                // 0000000141E4: 685A5A3C
	v_lshlrev_b32_e32 v45, 2, v45                              // 0000000141E8: 245A5A82
	ds_write_b64 v45, v[224:225] offset:41472                  // 0000000141EC: D89AA200 0000E02D
	ds_write_b64 v45, v[226:227] offset:43648                  // 0000000141F4: D89AAA80 0000E22D
	v_lshrrev_b32_e32 v41, 1, v0                               // 0000000141FC: 20520081
	v_mul_i32_i24_e32 v45, 34, v41                             // 000000014200: 0C5A52A2
	v_and_b32_e32 v42, 1, v0                                   // 000000014204: 26540081
	v_add_u32_e32 v45, v42, v45                                // 000000014208: 685A5B2A
	s_mul_i32 s60, s7, 2                                       // 00000001420C: 923C8207
	v_add_u32_e32 v45, s60, v45                                // 000000014210: 685A5A3C
	v_lshlrev_b32_e32 v45, 2, v45                              // 000000014214: 245A5A82
	s_waitcnt lgkmcnt(0)                                       // 000000014218: BF8CC07F
	s_barrier                                                  // 00000001421C: BF8A0000
	ds_read_b32 v224, v45 offset:41472                         // 000000014220: D86CA200 E000002D
	ds_read_b32 v225, v45 offset:41504                         // 000000014228: D86CA220 E100002D
	ds_read_b32 v226, v45 offset:41536                         // 000000014230: D86CA240 E200002D
	ds_read_b32 v227, v45 offset:41568                         // 000000014238: D86CA260 E300002D
	s_mul_i32 s60, s7, 0x100                                   // 000000014240: 923CFF07 00000100
	v_lshlrev_b32_e32 v41, 2, v0                               // 000000014248: 24520082
	v_add_u32_e64 v41, v41, s60                                // 00000001424C: D1340029 00007929
	s_waitcnt lgkmcnt(0)                                       // 000000014254: BF8CC07F
	buffer_store_dword v224, v41, s[8:11], 0 offen             // 000000014258: E0701000 8002E029
	buffer_store_dword v225, v41, s[8:11], 0 offen offset:1024 // 000000014260: E0701400 8002E129
	s_add_u32 s8, s75, s8                                      // 000000014268: 8008084B
	s_addc_u32 s9, 0, s9                                       // 00000001426C: 82090980
	buffer_store_dword v226, v41, s[8:11], 0 offen             // 000000014270: E0701000 8002E229
	buffer_store_dword v227, v41, s[8:11], 0 offen offset:1024 // 000000014278: E0701400 8002E329
	s_add_u32 s8, s75, s8                                      // 000000014280: 8008084B
	s_addc_u32 s9, 0, s9                                       // 000000014284: 82090980
	v_mul_f32_e32 v232, v64, v232                              // 000000014288: 0BD1D140
	v_mul_f32_e32 v233, v64, v233                              // 00000001428C: 0BD3D340
	v_mul_f32_e32 v234, v64, v234                              // 000000014290: 0BD5D540
	v_mul_f32_e32 v235, v64, v235                              // 000000014294: 0BD7D740
	v_mul_f32_e32 v236, v64, v236                              // 000000014298: 0BD9D940
	v_mul_f32_e32 v237, v64, v237                              // 00000001429C: 0BDBDB40
	v_mul_f32_e32 v238, v64, v238                              // 0000000142A0: 0BDDDD40
	v_mul_f32_e32 v239, v64, v239                              // 0000000142A4: 0BDFDF40
	v_cvt_f32_i32_e32 v200, v200                               // 0000000142A8: 7F900BC8
	v_cvt_f32_i32_e32 v201, v201                               // 0000000142AC: 7F920BC9
	v_cvt_f32_i32_e32 v202, v202                               // 0000000142B0: 7F940BCA
	v_cvt_f32_i32_e32 v203, v203                               // 0000000142B4: 7F960BCB
	v_cvt_f32_i32_e32 v204, v204                               // 0000000142B8: 7F980BCC
	v_cvt_f32_i32_e32 v205, v205                               // 0000000142BC: 7F9A0BCD
	v_cvt_f32_i32_e32 v206, v206                               // 0000000142C0: 7F9C0BCE
	v_cvt_f32_i32_e32 v207, v207                               // 0000000142C4: 7F9E0BCF
	v_mul_f32_e32 v200, v59, v200                              // 0000000142C8: 0B91913B
	v_mul_f32_e32 v201, v59, v201                              // 0000000142CC: 0B93933B
	v_mul_f32_e32 v202, v59, v202                              // 0000000142D0: 0B95953B
	v_mul_f32_e32 v203, v59, v203                              // 0000000142D4: 0B97973B
	v_mul_f32_e32 v204, v59, v204                              // 0000000142D8: 0B99993B
	v_mul_f32_e32 v205, v59, v205                              // 0000000142DC: 0B9B9B3B
	v_mul_f32_e32 v206, v59, v206                              // 0000000142E0: 0B9D9D3B
	v_mul_f32_e32 v207, v59, v207                              // 0000000142E4: 0B9F9F3B
	v_add_f32_e32 v232, v232, v200                             // 0000000142E8: 03D191E8
	v_add_f32_e32 v233, v233, v201                             // 0000000142EC: 03D393E9
	v_add_f32_e32 v234, v234, v202                             // 0000000142F0: 03D595EA
	v_add_f32_e32 v235, v235, v203                             // 0000000142F4: 03D797EB
	v_add_f32_e32 v236, v236, v204                             // 0000000142F8: 03D999EC
	v_add_f32_e32 v237, v237, v205                             // 0000000142FC: 03DB9BED
	v_add_f32_e32 v238, v238, v206                             // 000000014300: 03DD9DEE
	v_add_f32_e32 v239, v239, v207                             // 000000014304: 03DF9FEF
	ds_write_b32 v11, v48 offset:16896                         // 000000014308: D81A4200 0000300B
	s_waitcnt lgkmcnt(0)                                       // 000000014310: BF8CC07F
	s_barrier                                                  // 000000014314: BF8A0000
	ds_read_b32 v80, v10 offset:16896                          // 000000014318: D86C4200 5000000A
	ds_read_b32 v81, v10 offset:16960                          // 000000014320: D86C4240 5100000A
	ds_read_b32 v82, v10 offset:17024                          // 000000014328: D86C4280 5200000A
	ds_read_b32 v83, v10 offset:17088                          // 000000014330: D86C42C0 5300000A
	ds_read_b32 v84, v10 offset:17152                          // 000000014338: D86C4300 5400000A
	ds_read_b32 v85, v10 offset:17216                          // 000000014340: D86C4340 5500000A
	ds_read_b32 v86, v10 offset:17280                          // 000000014348: D86C4380 5600000A
	ds_read_b32 v87, v10 offset:17344                          // 000000014350: D86C43C0 5700000A
	ds_read_b32 v88, v10 offset:17408                          // 000000014358: D86C4400 5800000A
	ds_read_b32 v89, v10 offset:17472                          // 000000014360: D86C4440 5900000A
	ds_read_b32 v90, v10 offset:17536                          // 000000014368: D86C4480 5A00000A
	ds_read_b32 v91, v10 offset:17600                          // 000000014370: D86C44C0 5B00000A
	ds_read_b32 v92, v10 offset:17664                          // 000000014378: D86C4500 5C00000A
	ds_read_b32 v93, v10 offset:17728                          // 000000014380: D86C4540 5D00000A
	ds_read_b32 v94, v10 offset:17792                          // 000000014388: D86C4580 5E00000A
	ds_read_b32 v95, v10 offset:17856                          // 000000014390: D86C45C0 5F00000A
	s_waitcnt lgkmcnt(0)                                       // 000000014398: BF8CC07F
	v_mov_b32_e32 v48, 0                                       // 00000001439C: 7E600280
	v_add_f32_e32 v48, v80, v48                                // 0000000143A0: 02606150
	v_add_f32_e32 v48, v81, v48                                // 0000000143A4: 02606151
	v_add_f32_e32 v48, v82, v48                                // 0000000143A8: 02606152
	v_add_f32_e32 v48, v83, v48                                // 0000000143AC: 02606153
	v_add_f32_e32 v48, v84, v48                                // 0000000143B0: 02606154
	v_add_f32_e32 v48, v85, v48                                // 0000000143B4: 02606155
	v_add_f32_e32 v48, v86, v48                                // 0000000143B8: 02606156
	v_add_f32_e32 v48, v87, v48                                // 0000000143BC: 02606157
	v_add_f32_e32 v48, v88, v48                                // 0000000143C0: 02606158
	v_add_f32_e32 v48, v89, v48                                // 0000000143C4: 02606159
	v_add_f32_e32 v48, v90, v48                                // 0000000143C8: 0260615A
	v_add_f32_e32 v48, v91, v48                                // 0000000143CC: 0260615B
	v_add_f32_e32 v48, v92, v48                                // 0000000143D0: 0260615C
	v_add_f32_e32 v48, v93, v48                                // 0000000143D4: 0260615D
	v_add_f32_e32 v48, v94, v48                                // 0000000143D8: 0260615E
	v_add_f32_e32 v48, v95, v48                                // 0000000143DC: 0260615F
	s_nop 1                                                    // 0000000143E0: BF800001
	v_rcp_f32_e32 v48, v48                                     // 0000000143E4: 7E604530
	s_nop 1                                                    // 0000000143E8: BF800001
	v_mul_f32_e32 v232, v48, v232                              // 0000000143EC: 0BD1D130
	v_mul_f32_e32 v233, v48, v233                              // 0000000143F0: 0BD3D330
	v_mul_f32_e32 v234, v48, v234                              // 0000000143F4: 0BD5D530
	v_mul_f32_e32 v235, v48, v235                              // 0000000143F8: 0BD7D730
	v_mul_f32_e32 v236, v48, v236                              // 0000000143FC: 0BD9D930
	v_mul_f32_e32 v237, v48, v237                              // 000000014400: 0BDBDB30
	v_mul_f32_e32 v238, v48, v238                              // 000000014404: 0BDDDD30
	v_mul_f32_e32 v239, v48, v239                              // 000000014408: 0BDFDF30
	v_cvt_pkrtz_f16_f32 v41, v232, v233                        // 00000001440C: D2960029 0003D3E8
	v_mov_b32_e32 v232, v41                                    // 000000014414: 7FD00329
	v_cvt_pkrtz_f16_f32 v41, v234, v235                        // 000000014418: D2960029 0003D7EA
	v_mov_b32_e32 v233, v41                                    // 000000014420: 7FD20329
	v_cvt_pkrtz_f16_f32 v41, v236, v237                        // 000000014424: D2960029 0003DBEC
	v_mov_b32_e32 v234, v41                                    // 00000001442C: 7FD40329
	v_cvt_pkrtz_f16_f32 v41, v238, v239                        // 000000014430: D2960029 0003DFEE
	v_mov_b32_e32 v235, v41                                    // 000000014438: 7FD60329
	s_nop 1                                                    // 00000001443C: BF800001
	v_lshrrev_b32_e32 v41, 4, v0                               // 000000014440: 20520084
	v_mul_i32_i24_e32 v45, 34, v41                             // 000000014444: 0C5A52A2
	v_and_b32_e32 v41, 15, v0                                  // 000000014448: 2652008F
	v_mul_i32_i24_e32 v42, 2, v41                              // 00000001444C: 0C545282
	v_add_u32_e32 v45, v42, v45                                // 000000014450: 685A5B2A
	s_mul_i32 s60, s7, 0x88                                    // 000000014454: 923CFF07 00000088
	v_add_u32_e32 v45, s60, v45                                // 00000001445C: 685A5A3C
	v_lshlrev_b32_e32 v45, 2, v45                              // 000000014460: 245A5A82
	ds_write_b64 v45, v[232:233] offset:41472                  // 000000014464: D89AA200 0000E82D
	ds_write_b64 v45, v[234:235] offset:43648                  // 00000001446C: D89AAA80 0000EA2D
	v_lshrrev_b32_e32 v41, 1, v0                               // 000000014474: 20520081
	v_mul_i32_i24_e32 v45, 34, v41                             // 000000014478: 0C5A52A2
	v_and_b32_e32 v42, 1, v0                                   // 00000001447C: 26540081
	v_add_u32_e32 v45, v42, v45                                // 000000014480: 685A5B2A
	s_mul_i32 s60, s7, 2                                       // 000000014484: 923C8207
	v_add_u32_e32 v45, s60, v45                                // 000000014488: 685A5A3C
	v_lshlrev_b32_e32 v45, 2, v45                              // 00000001448C: 245A5A82
	s_waitcnt lgkmcnt(0)                                       // 000000014490: BF8CC07F
	s_barrier                                                  // 000000014494: BF8A0000
	ds_read_b32 v232, v45 offset:41472                         // 000000014498: D86CA200 E800002D
	ds_read_b32 v233, v45 offset:41504                         // 0000000144A0: D86CA220 E900002D
	ds_read_b32 v234, v45 offset:41536                         // 0000000144A8: D86CA240 EA00002D
	ds_read_b32 v235, v45 offset:41568                         // 0000000144B0: D86CA260 EB00002D
	s_mul_i32 s60, s7, 0x100                                   // 0000000144B8: 923CFF07 00000100
	v_lshlrev_b32_e32 v41, 2, v0                               // 0000000144C0: 24520082
	v_add_u32_e64 v41, v41, s60                                // 0000000144C4: D1340029 00007929
	s_waitcnt lgkmcnt(0)                                       // 0000000144CC: BF8CC07F
	buffer_store_dword v232, v41, s[8:11], 0 offen             // 0000000144D0: E0701000 8002E829
	buffer_store_dword v233, v41, s[8:11], 0 offen offset:1024 // 0000000144D8: E0701400 8002E929
	s_add_u32 s8, s75, s8                                      // 0000000144E0: 8008084B
	s_addc_u32 s9, 0, s9                                       // 0000000144E4: 82090980
	buffer_store_dword v234, v41, s[8:11], 0 offen             // 0000000144E8: E0701000 8002EA29
	buffer_store_dword v235, v41, s[8:11], 0 offen offset:1024 // 0000000144F0: E0701400 8002EB29
	s_add_u32 s8, s75, s8                                      // 0000000144F8: 8008084B
	s_addc_u32 s9, 0, s9                                       // 0000000144FC: 82090980
	s_branch label_49F4                                        // 000000014500: BF820133

0000000000014504 <label_48C1>:
	v_mul_f32_e32 v224, v63, v224                              // 000000014504: 0BC1C13F
	v_mul_f32_e32 v225, v63, v225                              // 000000014508: 0BC3C33F
	v_mul_f32_e32 v226, v63, v226                              // 00000001450C: 0BC5C53F
	v_mul_f32_e32 v227, v63, v227                              // 000000014510: 0BC7C73F
	v_mul_f32_e32 v228, v63, v228                              // 000000014514: 0BC9C93F
	v_mul_f32_e32 v229, v63, v229                              // 000000014518: 0BCBCB3F
	v_mul_f32_e32 v230, v63, v230                              // 00000001451C: 0BCDCD3F
	v_mul_f32_e32 v231, v63, v231                              // 000000014520: 0BCFCF3F
	v_cvt_f32_i32_e32 v192, v192                               // 000000014524: 7F800BC0
	v_cvt_f32_i32_e32 v193, v193                               // 000000014528: 7F820BC1
	v_cvt_f32_i32_e32 v194, v194                               // 00000001452C: 7F840BC2
	v_cvt_f32_i32_e32 v195, v195                               // 000000014530: 7F860BC3
	v_cvt_f32_i32_e32 v196, v196                               // 000000014534: 7F880BC4
	v_cvt_f32_i32_e32 v197, v197                               // 000000014538: 7F8A0BC5
	v_cvt_f32_i32_e32 v198, v198                               // 00000001453C: 7F8C0BC6
	v_cvt_f32_i32_e32 v199, v199                               // 000000014540: 7F8E0BC7
	v_mul_f32_e32 v192, v58, v192                              // 000000014544: 0B81813A
	v_mul_f32_e32 v193, v58, v193                              // 000000014548: 0B83833A
	v_mul_f32_e32 v194, v58, v194                              // 00000001454C: 0B85853A
	v_mul_f32_e32 v195, v58, v195                              // 000000014550: 0B87873A
	v_mul_f32_e32 v196, v58, v196                              // 000000014554: 0B89893A
	v_mul_f32_e32 v197, v58, v197                              // 000000014558: 0B8B8B3A
	v_mul_f32_e32 v198, v58, v198                              // 00000001455C: 0B8D8D3A
	v_mul_f32_e32 v199, v58, v199                              // 000000014560: 0B8F8F3A
	v_add_f32_e32 v224, v224, v192                             // 000000014564: 03C181E0
	v_add_f32_e32 v225, v225, v193                             // 000000014568: 03C383E1
	v_add_f32_e32 v226, v226, v194                             // 00000001456C: 03C585E2
	v_add_f32_e32 v227, v227, v195                             // 000000014570: 03C787E3
	v_add_f32_e32 v228, v228, v196                             // 000000014574: 03C989E4
	v_add_f32_e32 v229, v229, v197                             // 000000014578: 03CB8BE5
	v_add_f32_e32 v230, v230, v198                             // 00000001457C: 03CD8DE6
	v_add_f32_e32 v231, v231, v199                             // 000000014580: 03CF8FE7
	ds_write_b32 v11, v47 offset:16896                         // 000000014584: D81A4200 00002F0B
	s_waitcnt lgkmcnt(0)                                       // 00000001458C: BF8CC07F
	s_barrier                                                  // 000000014590: BF8A0000
	ds_read_b32 v80, v10 offset:16896                          // 000000014594: D86C4200 5000000A
	ds_read_b32 v81, v10 offset:16960                          // 00000001459C: D86C4240 5100000A
	ds_read_b32 v82, v10 offset:17024                          // 0000000145A4: D86C4280 5200000A
	ds_read_b32 v83, v10 offset:17088                          // 0000000145AC: D86C42C0 5300000A
	ds_read_b32 v84, v10 offset:17152                          // 0000000145B4: D86C4300 5400000A
	ds_read_b32 v85, v10 offset:17216                          // 0000000145BC: D86C4340 5500000A
	ds_read_b32 v86, v10 offset:17280                          // 0000000145C4: D86C4380 5600000A
	ds_read_b32 v87, v10 offset:17344                          // 0000000145CC: D86C43C0 5700000A
	ds_read_b32 v88, v10 offset:17408                          // 0000000145D4: D86C4400 5800000A
	ds_read_b32 v89, v10 offset:17472                          // 0000000145DC: D86C4440 5900000A
	ds_read_b32 v90, v10 offset:17536                          // 0000000145E4: D86C4480 5A00000A
	ds_read_b32 v91, v10 offset:17600                          // 0000000145EC: D86C44C0 5B00000A
	ds_read_b32 v92, v10 offset:17664                          // 0000000145F4: D86C4500 5C00000A
	ds_read_b32 v93, v10 offset:17728                          // 0000000145FC: D86C4540 5D00000A
	ds_read_b32 v94, v10 offset:17792                          // 000000014604: D86C4580 5E00000A
	ds_read_b32 v95, v10 offset:17856                          // 00000001460C: D86C45C0 5F00000A
	s_waitcnt lgkmcnt(0)                                       // 000000014614: BF8CC07F
	v_mov_b32_e32 v47, 0                                       // 000000014618: 7E5E0280
	v_add_f32_e32 v47, v80, v47                                // 00000001461C: 025E5F50
	v_add_f32_e32 v47, v81, v47                                // 000000014620: 025E5F51
	v_add_f32_e32 v47, v82, v47                                // 000000014624: 025E5F52
	v_add_f32_e32 v47, v83, v47                                // 000000014628: 025E5F53
	v_add_f32_e32 v47, v84, v47                                // 00000001462C: 025E5F54
	v_add_f32_e32 v47, v85, v47                                // 000000014630: 025E5F55
	v_add_f32_e32 v47, v86, v47                                // 000000014634: 025E5F56
	v_add_f32_e32 v47, v87, v47                                // 000000014638: 025E5F57
	v_add_f32_e32 v47, v88, v47                                // 00000001463C: 025E5F58
	v_add_f32_e32 v47, v89, v47                                // 000000014640: 025E5F59
	v_add_f32_e32 v47, v90, v47                                // 000000014644: 025E5F5A
	v_add_f32_e32 v47, v91, v47                                // 000000014648: 025E5F5B
	v_add_f32_e32 v47, v92, v47                                // 00000001464C: 025E5F5C
	v_add_f32_e32 v47, v93, v47                                // 000000014650: 025E5F5D
	v_add_f32_e32 v47, v94, v47                                // 000000014654: 025E5F5E
	v_add_f32_e32 v47, v95, v47                                // 000000014658: 025E5F5F
	s_nop 1                                                    // 00000001465C: BF800001
	v_rcp_f32_e32 v47, v47                                     // 000000014660: 7E5E452F
	s_nop 1                                                    // 000000014664: BF800001
	v_mul_f32_e32 v224, v47, v224                              // 000000014668: 0BC1C12F
	v_mul_f32_e32 v225, v47, v225                              // 00000001466C: 0BC3C32F
	v_mul_f32_e32 v226, v47, v226                              // 000000014670: 0BC5C52F
	v_mul_f32_e32 v227, v47, v227                              // 000000014674: 0BC7C72F
	v_mul_f32_e32 v228, v47, v228                              // 000000014678: 0BC9C92F
	v_mul_f32_e32 v229, v47, v229                              // 00000001467C: 0BCBCB2F
	v_mul_f32_e32 v230, v47, v230                              // 000000014680: 0BCDCD2F
	v_mul_f32_e32 v231, v47, v231                              // 000000014684: 0BCFCF2F
	v_cvt_pkrtz_f16_f32 v41, v224, v225                        // 000000014688: D2960029 0003C3E0
	v_mov_b32_e32 v224, v41                                    // 000000014690: 7FC00329
	v_cvt_pkrtz_f16_f32 v41, v226, v227                        // 000000014694: D2960029 0003C7E2
	v_mov_b32_e32 v225, v41                                    // 00000001469C: 7FC20329
	v_cvt_pkrtz_f16_f32 v41, v228, v229                        // 0000000146A0: D2960029 0003CBE4
	v_mov_b32_e32 v226, v41                                    // 0000000146A8: 7FC40329
	v_cvt_pkrtz_f16_f32 v41, v230, v231                        // 0000000146AC: D2960029 0003CFE6
	v_mov_b32_e32 v227, v41                                    // 0000000146B4: 7FC60329
	s_nop 1                                                    // 0000000146B8: BF800001
	v_lshrrev_b32_e32 v41, 4, v0                               // 0000000146BC: 20520084
	v_mul_i32_i24_e32 v45, 34, v41                             // 0000000146C0: 0C5A52A2
	v_and_b32_e32 v41, 15, v0                                  // 0000000146C4: 2652008F
	v_mul_i32_i24_e32 v42, 2, v41                              // 0000000146C8: 0C545282
	v_add_u32_e32 v45, v42, v45                                // 0000000146CC: 685A5B2A
	s_mul_i32 s60, s7, 0x88                                    // 0000000146D0: 923CFF07 00000088
	v_add_u32_e32 v45, s60, v45                                // 0000000146D8: 685A5A3C
	v_lshlrev_b32_e32 v45, 2, v45                              // 0000000146DC: 245A5A82
	ds_write_b64 v45, v[224:225] offset:41472                  // 0000000146E0: D89AA200 0000E02D
	ds_write_b64 v45, v[226:227] offset:43648                  // 0000000146E8: D89AAA80 0000E22D
	v_lshrrev_b32_e32 v41, 1, v0                               // 0000000146F0: 20520081
	v_mul_i32_i24_e32 v45, 34, v41                             // 0000000146F4: 0C5A52A2
	v_and_b32_e32 v42, 1, v0                                   // 0000000146F8: 26540081
	v_add_u32_e32 v45, v42, v45                                // 0000000146FC: 685A5B2A
	s_mul_i32 s60, s7, 2                                       // 000000014700: 923C8207
	v_add_u32_e32 v45, s60, v45                                // 000000014704: 685A5A3C
	v_lshlrev_b32_e32 v45, 2, v45                              // 000000014708: 245A5A82
	s_waitcnt lgkmcnt(0)                                       // 00000001470C: BF8CC07F
	s_barrier                                                  // 000000014710: BF8A0000
	ds_read_b32 v224, v45 offset:41472                         // 000000014714: D86CA200 E000002D
	ds_read_b32 v225, v45 offset:41504                         // 00000001471C: D86CA220 E100002D
	ds_read_b32 v226, v45 offset:41536                         // 000000014724: D86CA240 E200002D
	ds_read_b32 v227, v45 offset:41568                         // 00000001472C: D86CA260 E300002D
	s_mul_i32 s60, s7, 0x100                                   // 000000014734: 923CFF07 00000100
	v_lshlrev_b32_e32 v41, 2, v0                               // 00000001473C: 24520082
	v_add_u32_e64 v41, v41, s60                                // 000000014740: D1340029 00007929
	s_waitcnt lgkmcnt(0)                                       // 000000014748: BF8CC07F
	buffer_store_dword v224, v41, s[8:11], 0 offen             // 00000001474C: E0701000 8002E029
	buffer_store_dword v225, v41, s[8:11], 0 offen offset:1024 // 000000014754: E0701400 8002E129
	s_add_u32 s8, s75, s8                                      // 00000001475C: 8008084B
	s_addc_u32 s9, 0, s9                                       // 000000014760: 82090980
	buffer_store_dword v226, v41, s[8:11], 0 offen             // 000000014764: E0701000 8002E229
	buffer_store_dword v227, v41, s[8:11], 0 offen offset:1024 // 00000001476C: E0701400 8002E329
	s_add_u32 s8, s75, s8                                      // 000000014774: 8008084B
	s_addc_u32 s9, 0, s9                                       // 000000014778: 82090980
	v_mul_f32_e32 v232, v64, v232                              // 00000001477C: 0BD1D140
	v_mul_f32_e32 v233, v64, v233                              // 000000014780: 0BD3D340
	v_mul_f32_e32 v234, v64, v234                              // 000000014784: 0BD5D540
	v_mul_f32_e32 v235, v64, v235                              // 000000014788: 0BD7D740
	v_mul_f32_e32 v236, v64, v236                              // 00000001478C: 0BD9D940
	v_mul_f32_e32 v237, v64, v237                              // 000000014790: 0BDBDB40
	v_mul_f32_e32 v238, v64, v238                              // 000000014794: 0BDDDD40
	v_mul_f32_e32 v239, v64, v239                              // 000000014798: 0BDFDF40
	v_cvt_f32_i32_e32 v200, v200                               // 00000001479C: 7F900BC8
	v_cvt_f32_i32_e32 v201, v201                               // 0000000147A0: 7F920BC9
	v_cvt_f32_i32_e32 v202, v202                               // 0000000147A4: 7F940BCA
	v_cvt_f32_i32_e32 v203, v203                               // 0000000147A8: 7F960BCB
	v_cvt_f32_i32_e32 v204, v204                               // 0000000147AC: 7F980BCC
	v_cvt_f32_i32_e32 v205, v205                               // 0000000147B0: 7F9A0BCD
	v_cvt_f32_i32_e32 v206, v206                               // 0000000147B4: 7F9C0BCE
	v_cvt_f32_i32_e32 v207, v207                               // 0000000147B8: 7F9E0BCF
	v_mul_f32_e32 v200, v59, v200                              // 0000000147BC: 0B91913B
	v_mul_f32_e32 v201, v59, v201                              // 0000000147C0: 0B93933B
	v_mul_f32_e32 v202, v59, v202                              // 0000000147C4: 0B95953B
	v_mul_f32_e32 v203, v59, v203                              // 0000000147C8: 0B97973B
	v_mul_f32_e32 v204, v59, v204                              // 0000000147CC: 0B99993B
	v_mul_f32_e32 v205, v59, v205                              // 0000000147D0: 0B9B9B3B
	v_mul_f32_e32 v206, v59, v206                              // 0000000147D4: 0B9D9D3B
	v_mul_f32_e32 v207, v59, v207                              // 0000000147D8: 0B9F9F3B
	v_add_f32_e32 v232, v232, v200                             // 0000000147DC: 03D191E8
	v_add_f32_e32 v233, v233, v201                             // 0000000147E0: 03D393E9
	v_add_f32_e32 v234, v234, v202                             // 0000000147E4: 03D595EA
	v_add_f32_e32 v235, v235, v203                             // 0000000147E8: 03D797EB
	v_add_f32_e32 v236, v236, v204                             // 0000000147EC: 03D999EC
	v_add_f32_e32 v237, v237, v205                             // 0000000147F0: 03DB9BED
	v_add_f32_e32 v238, v238, v206                             // 0000000147F4: 03DD9DEE
	v_add_f32_e32 v239, v239, v207                             // 0000000147F8: 03DF9FEF
	ds_write_b32 v11, v48 offset:16896                         // 0000000147FC: D81A4200 0000300B
	s_waitcnt lgkmcnt(0)                                       // 000000014804: BF8CC07F
	s_barrier                                                  // 000000014808: BF8A0000
	ds_read_b32 v80, v10 offset:16896                          // 00000001480C: D86C4200 5000000A
	ds_read_b32 v81, v10 offset:16960                          // 000000014814: D86C4240 5100000A
	ds_read_b32 v82, v10 offset:17024                          // 00000001481C: D86C4280 5200000A
	ds_read_b32 v83, v10 offset:17088                          // 000000014824: D86C42C0 5300000A
	ds_read_b32 v84, v10 offset:17152                          // 00000001482C: D86C4300 5400000A
	ds_read_b32 v85, v10 offset:17216                          // 000000014834: D86C4340 5500000A
	ds_read_b32 v86, v10 offset:17280                          // 00000001483C: D86C4380 5600000A
	ds_read_b32 v87, v10 offset:17344                          // 000000014844: D86C43C0 5700000A
	ds_read_b32 v88, v10 offset:17408                          // 00000001484C: D86C4400 5800000A
	ds_read_b32 v89, v10 offset:17472                          // 000000014854: D86C4440 5900000A
	ds_read_b32 v90, v10 offset:17536                          // 00000001485C: D86C4480 5A00000A
	ds_read_b32 v91, v10 offset:17600                          // 000000014864: D86C44C0 5B00000A
	ds_read_b32 v92, v10 offset:17664                          // 00000001486C: D86C4500 5C00000A
	ds_read_b32 v93, v10 offset:17728                          // 000000014874: D86C4540 5D00000A
	ds_read_b32 v94, v10 offset:17792                          // 00000001487C: D86C4580 5E00000A
	ds_read_b32 v95, v10 offset:17856                          // 000000014884: D86C45C0 5F00000A
	s_waitcnt lgkmcnt(0)                                       // 00000001488C: BF8CC07F
	v_mov_b32_e32 v48, 0                                       // 000000014890: 7E600280
	v_add_f32_e32 v48, v80, v48                                // 000000014894: 02606150
	v_add_f32_e32 v48, v81, v48                                // 000000014898: 02606151
	v_add_f32_e32 v48, v82, v48                                // 00000001489C: 02606152
	v_add_f32_e32 v48, v83, v48                                // 0000000148A0: 02606153
	v_add_f32_e32 v48, v84, v48                                // 0000000148A4: 02606154
	v_add_f32_e32 v48, v85, v48                                // 0000000148A8: 02606155
	v_add_f32_e32 v48, v86, v48                                // 0000000148AC: 02606156
	v_add_f32_e32 v48, v87, v48                                // 0000000148B0: 02606157
	v_add_f32_e32 v48, v88, v48                                // 0000000148B4: 02606158
	v_add_f32_e32 v48, v89, v48                                // 0000000148B8: 02606159
	v_add_f32_e32 v48, v90, v48                                // 0000000148BC: 0260615A
	v_add_f32_e32 v48, v91, v48                                // 0000000148C0: 0260615B
	v_add_f32_e32 v48, v92, v48                                // 0000000148C4: 0260615C
	v_add_f32_e32 v48, v93, v48                                // 0000000148C8: 0260615D
	v_add_f32_e32 v48, v94, v48                                // 0000000148CC: 0260615E
	v_add_f32_e32 v48, v95, v48                                // 0000000148D0: 0260615F
	s_nop 1                                                    // 0000000148D4: BF800001
	v_rcp_f32_e32 v48, v48                                     // 0000000148D8: 7E604530
	s_nop 1                                                    // 0000000148DC: BF800001
	v_mul_f32_e32 v232, v48, v232                              // 0000000148E0: 0BD1D130
	v_mul_f32_e32 v233, v48, v233                              // 0000000148E4: 0BD3D330
	v_mul_f32_e32 v234, v48, v234                              // 0000000148E8: 0BD5D530
	v_mul_f32_e32 v235, v48, v235                              // 0000000148EC: 0BD7D730
	v_mul_f32_e32 v236, v48, v236                              // 0000000148F0: 0BD9D930
	v_mul_f32_e32 v237, v48, v237                              // 0000000148F4: 0BDBDB30
	v_mul_f32_e32 v238, v48, v238                              // 0000000148F8: 0BDDDD30
	v_mul_f32_e32 v239, v48, v239                              // 0000000148FC: 0BDFDF30
	v_cvt_pkrtz_f16_f32 v41, v232, v233                        // 000000014900: D2960029 0003D3E8
	v_mov_b32_e32 v232, v41                                    // 000000014908: 7FD00329
	v_cvt_pkrtz_f16_f32 v41, v234, v235                        // 00000001490C: D2960029 0003D7EA
	v_mov_b32_e32 v233, v41                                    // 000000014914: 7FD20329
	v_cvt_pkrtz_f16_f32 v41, v236, v237                        // 000000014918: D2960029 0003DBEC
	v_mov_b32_e32 v234, v41                                    // 000000014920: 7FD40329
	v_cvt_pkrtz_f16_f32 v41, v238, v239                        // 000000014924: D2960029 0003DFEE
	v_mov_b32_e32 v235, v41                                    // 00000001492C: 7FD60329
	s_nop 1                                                    // 000000014930: BF800001
	v_lshrrev_b32_e32 v41, 4, v0                               // 000000014934: 20520084
	v_mul_i32_i24_e32 v45, 34, v41                             // 000000014938: 0C5A52A2
	v_and_b32_e32 v41, 15, v0                                  // 00000001493C: 2652008F
	v_mul_i32_i24_e32 v42, 2, v41                              // 000000014940: 0C545282
	v_add_u32_e32 v45, v42, v45                                // 000000014944: 685A5B2A
	s_mul_i32 s60, s7, 0x88                                    // 000000014948: 923CFF07 00000088
	v_add_u32_e32 v45, s60, v45                                // 000000014950: 685A5A3C
	v_lshlrev_b32_e32 v45, 2, v45                              // 000000014954: 245A5A82
	ds_write_b64 v45, v[232:233] offset:41472                  // 000000014958: D89AA200 0000E82D
	ds_write_b64 v45, v[234:235] offset:43648                  // 000000014960: D89AAA80 0000EA2D
	v_lshrrev_b32_e32 v41, 1, v0                               // 000000014968: 20520081
	v_mul_i32_i24_e32 v45, 34, v41                             // 00000001496C: 0C5A52A2
	v_and_b32_e32 v42, 1, v0                                   // 000000014970: 26540081
	v_add_u32_e32 v45, v42, v45                                // 000000014974: 685A5B2A
	s_mul_i32 s60, s7, 2                                       // 000000014978: 923C8207
	v_add_u32_e32 v45, s60, v45                                // 00000001497C: 685A5A3C
	v_lshlrev_b32_e32 v45, 2, v45                              // 000000014980: 245A5A82
	s_waitcnt lgkmcnt(0)                                       // 000000014984: BF8CC07F
	s_barrier                                                  // 000000014988: BF8A0000
	ds_read_b32 v232, v45 offset:41472                         // 00000001498C: D86CA200 E800002D
	ds_read_b32 v233, v45 offset:41504                         // 000000014994: D86CA220 E900002D
	s_mul_i32 s60, s7, 0x100                                   // 00000001499C: 923CFF07 00000100
	v_lshlrev_b32_e32 v41, 2, v0                               // 0000000149A4: 24520082
	v_add_u32_e64 v41, v41, s60                                // 0000000149A8: D1340029 00007929
	s_waitcnt lgkmcnt(0)                                       // 0000000149B0: BF8CC07F
	buffer_store_dword v232, v41, s[8:11], 0 offen             // 0000000149B4: E0701000 8002E829
	buffer_store_dword v233, v41, s[8:11], 0 offen offset:1024 // 0000000149BC: E0701400 8002E929
	s_add_u32 s8, s75, s8                                      // 0000000149C4: 8008084B
	s_addc_u32 s9, 0, s9                                       // 0000000149C8: 82090980
	s_branch label_49F4                                        // 0000000149CC: BF820000

00000000000149d0 <label_49F4>:
	s_waitcnt vmcnt(0) expcnt(0) lgkmcnt(0)                    // 0000000149D0: BF8C0000
	s_endpgm                                                   // 0000000149D4: BF810000
